;; amdgpu-corpus repo=ROCm/rocFFT kind=compiled arch=gfx950 opt=O3
	.text
	.amdgcn_target "amdgcn-amd-amdhsa--gfx950"
	.amdhsa_code_object_version 6
	.protected	fft_rtc_back_len1008_factors_2_2_2_2_3_3_7_wgs_56_tpt_56_halfLds_half_op_CI_CI_sbrr_dirReg ; -- Begin function fft_rtc_back_len1008_factors_2_2_2_2_3_3_7_wgs_56_tpt_56_halfLds_half_op_CI_CI_sbrr_dirReg
	.globl	fft_rtc_back_len1008_factors_2_2_2_2_3_3_7_wgs_56_tpt_56_halfLds_half_op_CI_CI_sbrr_dirReg
	.p2align	8
	.type	fft_rtc_back_len1008_factors_2_2_2_2_3_3_7_wgs_56_tpt_56_halfLds_half_op_CI_CI_sbrr_dirReg,@function
fft_rtc_back_len1008_factors_2_2_2_2_3_3_7_wgs_56_tpt_56_halfLds_half_op_CI_CI_sbrr_dirReg: ; @fft_rtc_back_len1008_factors_2_2_2_2_3_3_7_wgs_56_tpt_56_halfLds_half_op_CI_CI_sbrr_dirReg
; %bb.0:
	s_load_dwordx4 s[12:15], s[0:1], 0x18
	s_load_dwordx4 s[4:7], s[0:1], 0x0
	;; [unrolled: 1-line block ×3, first 2 shown]
	v_mul_u32_u24_e32 v1, 0x493, v0
	v_add_u32_sdwa v10, s2, v1 dst_sel:DWORD dst_unused:UNUSED_PAD src0_sel:DWORD src1_sel:WORD_1
	s_waitcnt lgkmcnt(0)
	s_load_dwordx2 s[18:19], s[12:13], 0x0
	s_load_dwordx2 s[16:17], s[14:15], 0x0
	v_mov_b32_e32 v8, 0
	v_cmp_lt_u64_e64 s[2:3], s[6:7], 2
	v_mov_b32_e32 v11, v8
	s_and_b64 vcc, exec, s[2:3]
	v_mov_b64_e32 v[6:7], 0
	s_cbranch_vccnz .LBB0_8
; %bb.1:
	s_load_dwordx2 s[2:3], s[0:1], 0x10
	s_add_u32 s20, s14, 8
	s_addc_u32 s21, s15, 0
	s_add_u32 s22, s12, 8
	s_addc_u32 s23, s13, 0
	s_waitcnt lgkmcnt(0)
	s_add_u32 s24, s2, 8
	v_mov_b64_e32 v[6:7], 0
	s_addc_u32 s25, s3, 0
	s_mov_b64 s[26:27], 1
	v_mov_b64_e32 v[2:3], v[6:7]
.LBB0_2:                                ; =>This Inner Loop Header: Depth=1
	s_load_dwordx2 s[28:29], s[24:25], 0x0
                                        ; implicit-def: $vgpr4_vgpr5
	s_waitcnt lgkmcnt(0)
	v_or_b32_e32 v9, s29, v11
	v_cmp_ne_u64_e32 vcc, 0, v[8:9]
	s_and_saveexec_b64 s[2:3], vcc
	s_xor_b64 s[30:31], exec, s[2:3]
	s_cbranch_execz .LBB0_4
; %bb.3:                                ;   in Loop: Header=BB0_2 Depth=1
	v_cvt_f32_u32_e32 v1, s28
	v_cvt_f32_u32_e32 v4, s29
	s_sub_u32 s2, 0, s28
	s_subb_u32 s3, 0, s29
	v_fmac_f32_e32 v1, 0x4f800000, v4
	v_rcp_f32_e32 v1, v1
	s_nop 0
	v_mul_f32_e32 v1, 0x5f7ffffc, v1
	v_mul_f32_e32 v4, 0x2f800000, v1
	v_trunc_f32_e32 v4, v4
	v_fmac_f32_e32 v1, 0xcf800000, v4
	v_cvt_u32_f32_e32 v9, v4
	v_cvt_u32_f32_e32 v1, v1
	v_mul_lo_u32 v4, s2, v9
	v_mul_hi_u32 v12, s2, v1
	v_mul_lo_u32 v5, s3, v1
	v_add_u32_e32 v12, v12, v4
	v_mul_lo_u32 v14, s2, v1
	v_add_u32_e32 v15, v12, v5
	v_mul_hi_u32 v4, v1, v14
	v_mul_hi_u32 v13, v1, v15
	v_mul_lo_u32 v12, v1, v15
	v_mov_b32_e32 v5, v8
	v_lshl_add_u64 v[4:5], v[4:5], 0, v[12:13]
	v_mul_hi_u32 v13, v9, v14
	v_mul_lo_u32 v14, v9, v14
	v_add_co_u32_e32 v4, vcc, v4, v14
	v_mul_hi_u32 v12, v9, v15
	s_nop 0
	v_addc_co_u32_e32 v4, vcc, v5, v13, vcc
	v_mov_b32_e32 v5, v8
	s_nop 0
	v_addc_co_u32_e32 v13, vcc, 0, v12, vcc
	v_mul_lo_u32 v12, v9, v15
	v_lshl_add_u64 v[4:5], v[4:5], 0, v[12:13]
	v_add_co_u32_e32 v1, vcc, v1, v4
	v_mul_lo_u32 v12, s2, v1
	s_nop 0
	v_addc_co_u32_e32 v9, vcc, v9, v5, vcc
	v_mul_lo_u32 v4, s2, v9
	v_mul_hi_u32 v5, s2, v1
	v_add_u32_e32 v4, v5, v4
	v_mul_lo_u32 v5, s3, v1
	v_add_u32_e32 v14, v4, v5
	v_mul_hi_u32 v16, v9, v12
	v_mul_lo_u32 v17, v9, v12
	v_mul_hi_u32 v5, v1, v14
	v_mul_lo_u32 v4, v1, v14
	v_mul_hi_u32 v12, v1, v12
	v_mov_b32_e32 v13, v8
	v_lshl_add_u64 v[4:5], v[12:13], 0, v[4:5]
	v_add_co_u32_e32 v4, vcc, v4, v17
	v_mul_hi_u32 v15, v9, v14
	s_nop 0
	v_addc_co_u32_e32 v4, vcc, v5, v16, vcc
	v_mul_lo_u32 v12, v9, v14
	s_nop 0
	v_addc_co_u32_e32 v13, vcc, 0, v15, vcc
	v_mov_b32_e32 v5, v8
	v_lshl_add_u64 v[4:5], v[4:5], 0, v[12:13]
	v_add_co_u32_e32 v1, vcc, v1, v4
	v_mul_hi_u32 v12, v10, v1
	s_nop 0
	v_addc_co_u32_e32 v9, vcc, v9, v5, vcc
	v_mad_u64_u32 v[4:5], s[2:3], v10, v9, 0
	v_mov_b32_e32 v13, v8
	v_lshl_add_u64 v[4:5], v[12:13], 0, v[4:5]
	v_mad_u64_u32 v[14:15], s[2:3], v11, v1, 0
	v_add_co_u32_e32 v1, vcc, v4, v14
	v_mad_u64_u32 v[12:13], s[2:3], v11, v9, 0
	s_nop 0
	v_addc_co_u32_e32 v4, vcc, v5, v15, vcc
	v_mov_b32_e32 v5, v8
	s_nop 0
	v_addc_co_u32_e32 v13, vcc, 0, v13, vcc
	v_lshl_add_u64 v[4:5], v[4:5], 0, v[12:13]
	v_mul_lo_u32 v1, s29, v4
	v_mul_lo_u32 v9, s28, v5
	v_mad_u64_u32 v[12:13], s[2:3], s28, v4, 0
	v_add3_u32 v1, v13, v9, v1
	v_sub_u32_e32 v9, v11, v1
	v_mov_b32_e32 v13, s29
	v_sub_co_u32_e32 v16, vcc, v10, v12
	v_lshl_add_u64 v[14:15], v[4:5], 0, 1
	s_nop 0
	v_subb_co_u32_e64 v9, s[2:3], v9, v13, vcc
	v_subrev_co_u32_e64 v12, s[2:3], s28, v16
	v_subb_co_u32_e32 v1, vcc, v11, v1, vcc
	s_nop 0
	v_subbrev_co_u32_e64 v9, s[2:3], 0, v9, s[2:3]
	v_cmp_le_u32_e64 s[2:3], s29, v9
	v_cmp_le_u32_e32 vcc, s29, v1
	s_nop 0
	v_cndmask_b32_e64 v13, 0, -1, s[2:3]
	v_cmp_le_u32_e64 s[2:3], s28, v12
	s_nop 1
	v_cndmask_b32_e64 v12, 0, -1, s[2:3]
	v_cmp_eq_u32_e64 s[2:3], s29, v9
	s_nop 1
	v_cndmask_b32_e64 v9, v13, v12, s[2:3]
	v_lshl_add_u64 v[12:13], v[4:5], 0, 2
	v_cmp_ne_u32_e64 s[2:3], 0, v9
	s_nop 1
	v_cndmask_b32_e64 v9, v15, v13, s[2:3]
	v_cndmask_b32_e64 v13, 0, -1, vcc
	v_cmp_le_u32_e32 vcc, s28, v16
	s_nop 1
	v_cndmask_b32_e64 v15, 0, -1, vcc
	v_cmp_eq_u32_e32 vcc, s29, v1
	s_nop 1
	v_cndmask_b32_e32 v1, v13, v15, vcc
	v_cmp_ne_u32_e32 vcc, 0, v1
	v_cndmask_b32_e64 v1, v14, v12, s[2:3]
	s_nop 0
	v_cndmask_b32_e32 v5, v5, v9, vcc
	v_cndmask_b32_e32 v4, v4, v1, vcc
.LBB0_4:                                ;   in Loop: Header=BB0_2 Depth=1
	s_andn2_saveexec_b64 s[2:3], s[30:31]
	s_cbranch_execz .LBB0_6
; %bb.5:                                ;   in Loop: Header=BB0_2 Depth=1
	v_cvt_f32_u32_e32 v1, s28
	s_sub_i32 s30, 0, s28
	v_rcp_iflag_f32_e32 v1, v1
	s_nop 0
	v_mul_f32_e32 v1, 0x4f7ffffe, v1
	v_cvt_u32_f32_e32 v1, v1
	v_mul_lo_u32 v4, s30, v1
	v_mul_hi_u32 v4, v1, v4
	v_add_u32_e32 v1, v1, v4
	v_mul_hi_u32 v1, v10, v1
	v_mul_lo_u32 v4, v1, s28
	v_sub_u32_e32 v4, v10, v4
	v_add_u32_e32 v5, 1, v1
	v_subrev_u32_e32 v9, s28, v4
	v_cmp_le_u32_e32 vcc, s28, v4
	s_nop 1
	v_cndmask_b32_e32 v4, v4, v9, vcc
	v_cndmask_b32_e32 v1, v1, v5, vcc
	v_add_u32_e32 v5, 1, v1
	v_cmp_le_u32_e32 vcc, s28, v4
	s_nop 1
	v_cndmask_b32_e32 v4, v1, v5, vcc
	v_mov_b32_e32 v5, v8
.LBB0_6:                                ;   in Loop: Header=BB0_2 Depth=1
	s_or_b64 exec, exec, s[2:3]
	v_mad_u64_u32 v[12:13], s[2:3], v4, s28, 0
	s_load_dwordx2 s[2:3], s[22:23], 0x0
	v_mul_lo_u32 v1, v5, s28
	v_mul_lo_u32 v9, v4, s29
	s_load_dwordx2 s[28:29], s[20:21], 0x0
	s_add_u32 s26, s26, 1
	v_add3_u32 v1, v13, v9, v1
	v_sub_co_u32_e32 v9, vcc, v10, v12
	s_addc_u32 s27, s27, 0
	s_nop 0
	v_subb_co_u32_e32 v1, vcc, v11, v1, vcc
	s_add_u32 s20, s20, 8
	s_waitcnt lgkmcnt(0)
	v_mul_lo_u32 v10, s2, v1
	v_mul_lo_u32 v11, s3, v9
	v_mad_u64_u32 v[6:7], s[2:3], s2, v9, v[6:7]
	s_addc_u32 s21, s21, 0
	v_add3_u32 v7, v11, v7, v10
	v_mul_lo_u32 v1, s28, v1
	v_mul_lo_u32 v10, s29, v9
	v_mad_u64_u32 v[2:3], s[2:3], s28, v9, v[2:3]
	s_add_u32 s22, s22, 8
	v_add3_u32 v3, v10, v3, v1
	s_addc_u32 s23, s23, 0
	v_mov_b64_e32 v[10:11], s[6:7]
	s_add_u32 s24, s24, 8
	v_cmp_ge_u64_e32 vcc, s[26:27], v[10:11]
	s_addc_u32 s25, s25, 0
	s_cbranch_vccnz .LBB0_9
; %bb.7:                                ;   in Loop: Header=BB0_2 Depth=1
	v_mov_b64_e32 v[10:11], v[4:5]
	s_branch .LBB0_2
.LBB0_8:
	v_mov_b64_e32 v[2:3], v[6:7]
	v_mov_b64_e32 v[4:5], v[10:11]
.LBB0_9:
	s_load_dwordx2 s[0:1], s[0:1], 0x28
	s_lshl_b64 s[6:7], s[6:7], 3
	s_add_u32 s2, s14, s6
	s_addc_u32 s3, s15, s7
                                        ; implicit-def: $sgpr14
                                        ; implicit-def: $vgpr14
                                        ; implicit-def: $vgpr16
                                        ; implicit-def: $vgpr15
                                        ; implicit-def: $vgpr12
                                        ; implicit-def: $vgpr20
                                        ; implicit-def: $vgpr21
                                        ; implicit-def: $vgpr11
                                        ; implicit-def: $vgpr13
                                        ; implicit-def: $vgpr17
	s_waitcnt lgkmcnt(0)
	v_cmp_gt_u64_e32 vcc, s[0:1], v[4:5]
	v_cmp_le_u64_e64 s[0:1], s[0:1], v[4:5]
	s_and_saveexec_b64 s[20:21], s[0:1]
	s_xor_b64 s[0:1], exec, s[20:21]
	s_cbranch_execz .LBB0_11
; %bb.10:
	s_mov_b32 s14, 0x4924925
	v_mul_hi_u32 v1, v0, s14
	v_mul_u32_u24_e32 v1, 56, v1
	v_sub_u32_e32 v14, v0, v1
	v_add_u32_e32 v16, 56, v14
	v_add_u32_e32 v15, 0x70, v14
	;; [unrolled: 1-line block ×7, first 2 shown]
	v_or_b32_e32 v17, 0x1c0, v14
	s_mov_b32 s14, 0
                                        ; implicit-def: $vgpr0
                                        ; implicit-def: $vgpr6_vgpr7
.LBB0_11:
	s_or_saveexec_b64 s[0:1], s[0:1]
	v_mov_b32_e32 v1, s14
	v_mov_b32_e32 v32, s14
	;; [unrolled: 1-line block ×9, first 2 shown]
                                        ; implicit-def: $vgpr26
                                        ; implicit-def: $vgpr18
                                        ; implicit-def: $vgpr45
                                        ; implicit-def: $vgpr10
                                        ; implicit-def: $vgpr44
                                        ; implicit-def: $vgpr9
                                        ; implicit-def: $vgpr42
                                        ; implicit-def: $vgpr8
                                        ; implicit-def: $vgpr37
                                        ; implicit-def: $vgpr24
                                        ; implicit-def: $vgpr38
                                        ; implicit-def: $vgpr23
                                        ; implicit-def: $vgpr39
                                        ; implicit-def: $vgpr22
                                        ; implicit-def: $vgpr40
                                        ; implicit-def: $vgpr19
                                        ; implicit-def: $vgpr41
                                        ; implicit-def: $vgpr25
	s_xor_b64 exec, exec, s[0:1]
	s_cbranch_execz .LBB0_13
; %bb.12:
	s_add_u32 s6, s12, s6
	s_addc_u32 s7, s13, s7
	s_load_dwordx2 s[6:7], s[6:7], 0x0
	s_mov_b32 s12, 0x4924925
	s_waitcnt lgkmcnt(0)
	v_mul_lo_u32 v1, s7, v4
	v_mul_lo_u32 v10, s6, v5
	v_mad_u64_u32 v[8:9], s[6:7], s6, v4, 0
	v_add3_u32 v9, v9, v10, v1
	v_mul_hi_u32 v1, v0, s12
	v_mul_u32_u24_e32 v1, 56, v1
	v_sub_u32_e32 v14, v0, v1
	v_mad_u64_u32 v[0:1], s[6:7], s18, v14, 0
	v_mov_b32_e32 v10, v1
	v_mad_u64_u32 v[10:11], s[6:7], s19, v14, v[10:11]
	v_lshl_add_u64 v[8:9], v[8:9], 2, s[8:9]
	v_mov_b32_e32 v1, v10
	v_lshl_add_u64 v[6:7], v[6:7], 2, v[8:9]
	v_add_u32_e32 v9, 0x1f8, v14
	v_lshl_add_u64 v[20:21], v[0:1], 2, v[6:7]
	v_mad_u64_u32 v[0:1], s[6:7], s18, v9, 0
	v_mov_b32_e32 v8, v1
	v_mad_u64_u32 v[8:9], s[6:7], s19, v9, v[8:9]
	v_mov_b32_e32 v1, v8
	v_add_u32_e32 v16, 56, v14
	v_lshl_add_u64 v[22:23], v[0:1], 2, v[6:7]
	v_mad_u64_u32 v[0:1], s[6:7], s18, v16, 0
	v_mov_b32_e32 v8, v1
	v_mad_u64_u32 v[8:9], s[6:7], s19, v16, v[8:9]
	v_mov_b32_e32 v1, v8
	;; [unrolled: 6-line block ×7, first 2 shown]
	v_lshl_add_u64 v[38:39], v[0:1], 2, v[6:7]
	global_load_dword v1, v[20:21], off
	global_load_dword v18, v[22:23], off
	;; [unrolled: 1-line block ×8, first 2 shown]
	v_add_u32_e32 v20, 0xe0, v14
	v_mad_u64_u32 v[22:23], s[6:7], s18, v20, 0
	v_mov_b32_e32 v0, v23
	v_add_u32_e32 v11, 0x2d8, v14
	v_add_u32_e32 v21, 0x118, v14
	;; [unrolled: 1-line block ×3, first 2 shown]
	v_or_b32_e32 v17, 0x380, v14
	s_waitcnt vmcnt(7)
	v_mad_u64_u32 v[24:25], s[6:7], s19, v20, v[0:1]
	v_mov_b32_e32 v23, v24
	v_lshl_add_u64 v[26:27], v[22:23], 2, v[6:7]
	v_mad_u64_u32 v[22:23], s[6:7], s18, v11, 0
	v_mov_b32_e32 v0, v23
	v_mad_u64_u32 v[24:25], s[6:7], s19, v11, v[0:1]
	v_mov_b32_e32 v23, v24
	v_lshl_add_u64 v[28:29], v[22:23], 2, v[6:7]
	v_mad_u64_u32 v[22:23], s[6:7], s18, v21, 0
	v_mov_b32_e32 v0, v23
	v_mad_u64_u32 v[24:25], s[6:7], s19, v21, v[0:1]
	v_mov_b32_e32 v23, v24
	v_add_u32_e32 v11, 0x310, v14
	v_lshl_add_u64 v[38:39], v[22:23], 2, v[6:7]
	v_mad_u64_u32 v[22:23], s[6:7], s18, v11, 0
	v_mov_b32_e32 v0, v23
	v_mad_u64_u32 v[24:25], s[6:7], s19, v11, v[0:1]
	v_mov_b32_e32 v23, v24
	v_add_u32_e32 v11, 0x150, v14
	v_lshl_add_u64 v[40:41], v[22:23], 2, v[6:7]
	v_mad_u64_u32 v[22:23], s[6:7], s18, v11, 0
	v_mov_b32_e32 v0, v23
	v_mad_u64_u32 v[24:25], s[6:7], s19, v11, v[0:1]
	v_mov_b32_e32 v23, v24
	v_lshl_add_u64 v[42:43], v[22:23], 2, v[6:7]
	v_mad_u64_u32 v[22:23], s[6:7], s18, v13, 0
	v_mov_b32_e32 v0, v23
	v_mad_u64_u32 v[24:25], s[6:7], s19, v13, v[0:1]
	v_mov_b32_e32 v23, v24
	v_add_u32_e32 v13, 0x188, v14
	v_lshl_add_u64 v[44:45], v[22:23], 2, v[6:7]
	v_mad_u64_u32 v[22:23], s[6:7], s18, v13, 0
	v_mov_b32_e32 v0, v23
	v_mad_u64_u32 v[24:25], s[6:7], s19, v13, v[0:1]
	v_mov_b32_e32 v23, v24
	v_lshl_add_u64 v[46:47], v[22:23], 2, v[6:7]
	v_mad_u64_u32 v[22:23], s[6:7], s18, v17, 0
	v_mov_b32_e32 v0, v23
	v_mad_u64_u32 v[24:25], s[6:7], s19, v17, v[0:1]
	v_mov_b32_e32 v23, v24
	v_or_b32_e32 v17, 0x1c0, v14
	v_lshl_add_u64 v[48:49], v[22:23], 2, v[6:7]
	global_load_dword v33, v[26:27], off
	global_load_dword v24, v[28:29], off
	global_load_dword v34, v[38:39], off
	global_load_dword v23, v[40:41], off
	global_load_dword v35, v[42:43], off
	global_load_dword v22, v[44:45], off
	global_load_dword v36, v[46:47], off
	global_load_dword v19, v[48:49], off
	v_mad_u64_u32 v[26:27], s[6:7], s18, v17, 0
	v_mov_b32_e32 v0, v27
	v_mad_u64_u32 v[28:29], s[6:7], s19, v17, v[0:1]
	v_add_u32_e32 v25, 0x3b8, v14
	v_mov_b32_e32 v27, v28
	v_mad_u64_u32 v[28:29], s[6:7], s18, v25, 0
	v_mov_b32_e32 v0, v29
	v_mad_u64_u32 v[38:39], s[6:7], s19, v25, v[0:1]
	v_mov_b32_e32 v29, v38
	v_lshl_add_u64 v[26:27], v[26:27], 2, v[6:7]
	v_lshl_add_u64 v[6:7], v[28:29], 2, v[6:7]
	global_load_dword v25, v[6:7], off
	global_load_dword v43, v[26:27], off
	s_waitcnt vmcnt(16)
	v_lshrrev_b32_e32 v26, 16, v18
	s_waitcnt vmcnt(14)
	v_lshrrev_b32_e32 v45, 16, v10
	;; [unrolled: 2-line block ×9, first 2 shown]
.LBB0_13:
	s_or_b64 exec, exec, s[0:1]
	v_lshrrev_b32_e32 v0, 16, v1
	v_sub_f16_e32 v46, v0, v26
	v_sub_f16_e32 v6, v1, v18
	v_fma_f16 v47, v0, 2.0, -v46
	v_sub_f16_e32 v0, v32, v10
	v_fma_f16 v1, v1, 2.0, -v6
	v_fma_f16 v7, v32, 2.0, -v0
	v_sub_f16_e32 v9, v31, v9
	v_fma_f16 v26, v31, 2.0, -v9
	v_sub_f16_e32 v8, v30, v8
	v_lshl_add_u32 v54, v14, 2, 0
	v_pack_b32_f16 v1, v1, v6
	v_lshl_add_u32 v18, v16, 2, 0
	v_pack_b32_f16 v0, v7, v0
	v_fma_f16 v27, v30, 2.0, -v8
	v_sub_f16_e32 v28, v33, v24
	v_sub_f16_e32 v23, v34, v23
	;; [unrolled: 1-line block ×3, first 2 shown]
	ds_write_b32 v54, v1
	ds_write_b32 v18, v0
	v_lshl_add_u32 v22, v15, 2, 0
	v_pack_b32_f16 v0, v26, v9
	v_fma_f16 v29, v33, 2.0, -v28
	v_fma_f16 v48, v34, 2.0, -v23
	;; [unrolled: 1-line block ×3, first 2 shown]
	v_sub_f16_e32 v51, v36, v19
	s_waitcnt vmcnt(0)
	v_sub_f16_e32 v25, v43, v25
	ds_write_b32 v22, v0
	v_lshl_add_u32 v55, v12, 2, 0
	v_pack_b32_f16 v0, v27, v8
	v_lshrrev_b32_e32 v32, 16, v32
	v_fma_f16 v52, v36, 2.0, -v51
	v_fma_f16 v53, v43, 2.0, -v25
	ds_write_b32 v55, v0
	v_lshl_add_u32 v56, v20, 2, 0
	v_pack_b32_f16 v0, v29, v28
	v_lshl_add_u32 v57, v21, 2, 0
	v_pack_b32_f16 v1, v48, v23
	;; [unrolled: 2-line block ×3, first 2 shown]
	v_sub_f16_e32 v45, v32, v45
	v_lshlrev_b32_e32 v10, 1, v14
	v_lshlrev_b32_e32 v9, 1, v12
	ds_write_b32 v56, v0
	ds_write_b32 v57, v1
	v_lshlrev_b32_e32 v1, 1, v11
	ds_write_b32 v48, v6
	v_lshlrev_b32_e32 v6, 1, v13
	v_lshl_add_u32 v49, v13, 2, 0
	v_pack_b32_f16 v7, v52, v51
	v_lshl_add_u32 v50, v17, 2, 0
	v_pack_b32_f16 v11, v53, v25
	v_fma_f16 v32, v32, 2.0, -v45
	v_lshlrev_b32_e32 v19, 1, v16
	v_lshlrev_b32_e32 v24, 1, v15
	v_lshlrev_b32_e32 v8, 1, v20
	v_lshlrev_b32_e32 v0, 1, v21
	ds_write_b32 v49, v7
	v_lshlrev_b32_e32 v7, 1, v17
	ds_write_b32 v50, v11
	v_sub_u32_e32 v17, v54, v10
	v_sub_u32_e32 v26, v55, v9
	v_pack_b32_f16 v46, v47, v46
	v_sub_u32_e32 v11, v49, v6
	v_pack_b32_f16 v32, v32, v45
	v_lshrrev_b32_e32 v31, 16, v31
	s_load_dwordx2 s[2:3], s[2:3], 0x0
	s_waitcnt lgkmcnt(0)
	; wave barrier
	s_waitcnt lgkmcnt(0)
	v_sub_u32_e32 v23, v18, v19
	v_sub_u32_e32 v25, v22, v24
	;; [unrolled: 1-line block ×5, first 2 shown]
	ds_read_u16 v51, v26
	ds_read_u16 v52, v27
	;; [unrolled: 1-line block ×5, first 2 shown]
	ds_read_u16 v59, v17 offset:1008
	ds_read_u16 v60, v17 offset:1120
	;; [unrolled: 1-line block ×8, first 2 shown]
	v_sub_u32_e32 v13, v50, v7
	ds_read_u16 v67, v11
	ds_read_u16 v68, v13
	;; [unrolled: 1-line block ×4, first 2 shown]
	ds_read_u16 v71, v17 offset:1904
	s_waitcnt lgkmcnt(0)
	; wave barrier
	s_waitcnt lgkmcnt(0)
	ds_write_b32 v54, v46
	ds_write_b32 v18, v32
	v_sub_f16_e32 v32, v31, v44
	v_fma_f16 v31, v31, 2.0, -v32
	v_pack_b32_f16 v31, v31, v32
	v_lshrrev_b32_e32 v30, 16, v30
	ds_write_b32 v22, v31
	v_sub_f16_e32 v31, v30, v42
	v_fma_f16 v30, v30, 2.0, -v31
	v_pack_b32_f16 v30, v30, v31
	ds_write_b32 v55, v30
	v_lshrrev_b32_e32 v30, 16, v33
	v_sub_f16_e32 v31, v30, v37
	v_lshrrev_b32_e32 v32, 16, v34
	v_fma_f16 v30, v30, 2.0, -v31
	v_sub_f16_e32 v33, v32, v38
	v_lshrrev_b32_e32 v34, 16, v35
	v_fma_f16 v32, v32, 2.0, -v33
	v_sub_f16_e32 v35, v34, v39
	v_lshrrev_b32_e32 v36, 16, v36
	v_pack_b32_f16 v30, v30, v31
	v_fma_f16 v34, v34, 2.0, -v35
	v_sub_f16_e32 v37, v36, v40
	v_lshrrev_b32_e32 v38, 16, v43
	ds_write_b32 v56, v30
	v_pack_b32_f16 v30, v32, v33
	v_fma_f16 v36, v36, 2.0, -v37
	v_sub_f16_e32 v39, v38, v41
	ds_write_b32 v57, v30
	v_pack_b32_f16 v30, v34, v35
	v_fma_f16 v38, v38, 2.0, -v39
	ds_write_b32 v48, v30
	v_pack_b32_f16 v30, v36, v37
	ds_write_b32 v49, v30
	v_pack_b32_f16 v30, v38, v39
	ds_write_b32 v50, v30
	v_and_b32_e32 v30, 1, v14
	v_lshlrev_b32_e32 v31, 2, v30
	s_waitcnt lgkmcnt(0)
	; wave barrier
	s_waitcnt lgkmcnt(0)
	global_load_dword v31, v31, s[4:5]
	ds_read_u16 v32, v26
	ds_read_u16 v33, v27
	;; [unrolled: 1-line block ×4, first 2 shown]
	ds_read_u16 v36, v17 offset:1008
	ds_read_u16 v37, v17 offset:1120
	ds_read_u16 v38, v17 offset:1232
	ds_read_u16 v39, v17 offset:1344
	ds_read_u16 v40, v17 offset:1456
	ds_read_u16 v41, v17 offset:1568
	ds_read_u16 v42, v17 offset:1680
	ds_read_u16 v43, v17
	ds_read_u16 v56, v17 offset:1792
	s_movk_i32 s0, 0x7c
	s_movk_i32 s1, 0x2fc
	s_mov_b32 s8, 0xbaee
	s_movk_i32 s9, 0x3aee
	s_waitcnt vmcnt(0) lgkmcnt(8)
	v_mul_f16_sdwa v44, v36, v31 dst_sel:DWORD dst_unused:UNUSED_PAD src0_sel:DWORD src1_sel:WORD_1
	v_mul_f16_sdwa v45, v59, v31 dst_sel:DWORD dst_unused:UNUSED_PAD src0_sel:DWORD src1_sel:WORD_1
	;; [unrolled: 1-line block ×8, first 2 shown]
	v_fma_f16 v44, v59, v31, v44
	v_fma_f16 v36, v36, v31, -v45
	s_waitcnt lgkmcnt(7)
	v_mul_f16_sdwa v45, v37, v31 dst_sel:DWORD dst_unused:UNUSED_PAD src0_sel:DWORD src1_sel:WORD_1
	v_fma_f16 v37, v37, v31, -v46
	s_waitcnt lgkmcnt(6)
	v_mul_f16_sdwa v46, v38, v31 dst_sel:DWORD dst_unused:UNUSED_PAD src0_sel:DWORD src1_sel:WORD_1
	;; [unrolled: 3-line block ×6, first 2 shown]
	v_fma_f16 v42, v42, v31, -v55
	ds_read_u16 v55, v17 offset:1904
	ds_read_u16 v57, v25
	ds_read_u16 v59, v23
	v_fma_f16 v46, v61, v31, v46
	v_fma_f16 v49, v63, v31, v49
	v_mul_f16_sdwa v61, v66, v31 dst_sel:DWORD dst_unused:UNUSED_PAD src0_sel:DWORD src1_sel:WORD_1
	v_sub_f16_e32 v44, v47, v44
	v_and_or_b32 v63, v10, s0, v30
	v_fma_f16 v45, v60, v31, v45
	v_fma_f16 v48, v62, v31, v48
	s_waitcnt lgkmcnt(3)
	v_mul_f16_sdwa v60, v56, v31 dst_sel:DWORD dst_unused:UNUSED_PAD src0_sel:DWORD src1_sel:WORD_1
	v_fma_f16 v56, v56, v31, -v61
	s_waitcnt lgkmcnt(2)
	v_mul_f16_sdwa v61, v55, v31 dst_sel:DWORD dst_unused:UNUSED_PAD src0_sel:DWORD src1_sel:WORD_1
	v_mul_f16_sdwa v62, v71, v31 dst_sel:DWORD dst_unused:UNUSED_PAD src0_sel:DWORD src1_sel:WORD_1
	v_fma_f16 v47, v47, 2.0, -v44
	v_lshl_add_u32 v63, v63, 1, 0
	s_movk_i32 s0, 0xfc
	v_fma_f16 v50, v64, v31, v50
	v_fma_f16 v54, v65, v31, v54
	;; [unrolled: 1-line block ×4, first 2 shown]
	v_fma_f16 v31, v55, v31, -v62
	ds_read_u16 v55, v11
	ds_read_u16 v62, v13
	s_waitcnt lgkmcnt(0)
	; wave barrier
	s_waitcnt lgkmcnt(0)
	ds_write_b16 v63, v47
	ds_write_b16 v63, v44 offset:4
	v_sub_f16_e32 v44, v70, v45
	v_and_or_b32 v47, v19, s0, v30
	v_fma_f16 v45, v70, 2.0, -v44
	v_lshl_add_u32 v47, v47, 1, 0
	s_movk_i32 s0, 0x1fc
	ds_write_b16 v47, v45
	ds_write_b16 v47, v44 offset:4
	v_sub_f16_e32 v44, v69, v46
	v_and_or_b32 v46, v24, s0, v30
	v_fma_f16 v45, v69, 2.0, -v44
	v_lshl_add_u32 v46, v46, 1, 0
	ds_write_b16 v46, v45
	ds_write_b16 v46, v44 offset:4
	v_sub_f16_e32 v44, v51, v48
	v_and_or_b32 v48, v9, s0, v30
	v_fma_f16 v45, v51, 2.0, -v44
	v_lshl_add_u32 v48, v48, 1, 0
	s_movk_i32 s0, 0x3fc
	ds_write_b16 v48, v45
	v_sub_f16_e32 v45, v52, v49
	ds_write_b16 v48, v44 offset:4
	v_and_or_b32 v44, v8, s0, v30
	v_fma_f16 v49, v52, 2.0, -v45
	v_lshl_add_u32 v44, v44, 1, 0
	v_sub_f16_e32 v50, v53, v50
	ds_write_b16 v44, v49
	ds_write_b16 v44, v45 offset:4
	v_and_or_b32 v45, v0, s1, v30
	v_fma_f16 v51, v53, 2.0, -v50
	v_lshl_add_u32 v45, v45, 1, 0
	v_sub_f16_e32 v36, v43, v36
	v_sub_f16_e32 v52, v58, v54
	;; [unrolled: 1-line block ×4, first 2 shown]
	ds_write_b16 v45, v51
	ds_write_b16 v45, v50 offset:4
	v_and_or_b32 v49, v1, s0, v30
	v_and_or_b32 v50, v6, s0, v30
	;; [unrolled: 1-line block ×3, first 2 shown]
	v_fma_f16 v43, v43, 2.0, -v36
	v_fma_f16 v53, v58, 2.0, -v52
	;; [unrolled: 1-line block ×4, first 2 shown]
	v_lshl_add_u32 v49, v49, 1, 0
	v_lshl_add_u32 v50, v50, 1, 0
	;; [unrolled: 1-line block ×3, first 2 shown]
	ds_write_b16 v49, v53
	ds_write_b16 v49, v52 offset:4
	ds_write_b16 v50, v58
	ds_write_b16 v50, v54 offset:4
	;; [unrolled: 2-line block ×3, first 2 shown]
	s_waitcnt lgkmcnt(0)
	; wave barrier
	s_waitcnt lgkmcnt(0)
	ds_read_u16 v51, v26
	ds_read_u16 v52, v27
	;; [unrolled: 1-line block ×5, first 2 shown]
	ds_read_u16 v60, v17 offset:1008
	ds_read_u16 v61, v17 offset:1120
	;; [unrolled: 1-line block ×8, first 2 shown]
	ds_read_u16 v70, v11
	ds_read_u16 v71, v13
	;; [unrolled: 1-line block ×4, first 2 shown]
	ds_read_u16 v74, v17 offset:1904
	s_waitcnt lgkmcnt(0)
	; wave barrier
	s_waitcnt lgkmcnt(0)
	ds_write_b16 v63, v43
	ds_write_b16 v63, v36 offset:4
	v_sub_f16_e32 v36, v59, v37
	v_fma_f16 v37, v59, 2.0, -v36
	ds_write_b16 v47, v37
	ds_write_b16 v47, v36 offset:4
	v_sub_f16_e32 v36, v57, v38
	v_fma_f16 v37, v57, 2.0, -v36
	;; [unrolled: 4-line block ×4, first 2 shown]
	v_sub_f16_e32 v36, v34, v41
	v_sub_f16_e32 v37, v35, v42
	;; [unrolled: 1-line block ×4, first 2 shown]
	v_fma_f16 v34, v34, 2.0, -v36
	v_fma_f16 v35, v35, 2.0, -v37
	;; [unrolled: 1-line block ×4, first 2 shown]
	ds_write_b16 v44, v33
	ds_write_b16 v44, v32 offset:4
	ds_write_b16 v45, v34
	ds_write_b16 v45, v36 offset:4
	;; [unrolled: 2-line block ×5, first 2 shown]
	v_and_b32_e32 v30, 3, v14
	v_lshlrev_b32_e32 v31, 2, v30
	s_waitcnt lgkmcnt(0)
	; wave barrier
	s_waitcnt lgkmcnt(0)
	global_load_dword v31, v31, s[4:5] offset:8
	ds_read_u16 v32, v26
	ds_read_u16 v33, v27
	;; [unrolled: 1-line block ×4, first 2 shown]
	ds_read_u16 v36, v17 offset:1008
	ds_read_u16 v37, v17 offset:1120
	;; [unrolled: 1-line block ×7, first 2 shown]
	ds_read_u16 v43, v17
	ds_read_u16 v56, v17 offset:1792
	s_movk_i32 s0, 0x78
	v_and_or_b32 v63, v10, s0, v30
	v_lshl_add_u32 v63, v63, 1, 0
	s_movk_i32 s0, 0xf8
	s_movk_i32 s1, 0x2f8
	s_waitcnt vmcnt(0)
	v_mul_f16_sdwa v45, v60, v31 dst_sel:DWORD dst_unused:UNUSED_PAD src0_sel:DWORD src1_sel:WORD_1
	v_mul_f16_sdwa v46, v61, v31 dst_sel:DWORD dst_unused:UNUSED_PAD src0_sel:DWORD src1_sel:WORD_1
	;; [unrolled: 1-line block ×7, first 2 shown]
	s_waitcnt lgkmcnt(8)
	v_mul_f16_sdwa v44, v36, v31 dst_sel:DWORD dst_unused:UNUSED_PAD src0_sel:DWORD src1_sel:WORD_1
	v_fma_f16 v36, v36, v31, -v45
	s_waitcnt lgkmcnt(7)
	v_mul_f16_sdwa v45, v37, v31 dst_sel:DWORD dst_unused:UNUSED_PAD src0_sel:DWORD src1_sel:WORD_1
	v_fma_f16 v37, v37, v31, -v46
	s_waitcnt lgkmcnt(6)
	v_mul_f16_sdwa v46, v38, v31 dst_sel:DWORD dst_unused:UNUSED_PAD src0_sel:DWORD src1_sel:WORD_1
	v_fma_f16 v38, v38, v31, -v47
	s_waitcnt lgkmcnt(5)
	v_mul_f16_sdwa v47, v39, v31 dst_sel:DWORD dst_unused:UNUSED_PAD src0_sel:DWORD src1_sel:WORD_1
	v_fma_f16 v39, v39, v31, -v48
	s_waitcnt lgkmcnt(4)
	v_mul_f16_sdwa v48, v40, v31 dst_sel:DWORD dst_unused:UNUSED_PAD src0_sel:DWORD src1_sel:WORD_1
	v_fma_f16 v40, v40, v31, -v49
	s_waitcnt lgkmcnt(3)
	v_mul_f16_sdwa v49, v41, v31 dst_sel:DWORD dst_unused:UNUSED_PAD src0_sel:DWORD src1_sel:WORD_1
	v_fma_f16 v41, v41, v31, -v50
	s_waitcnt lgkmcnt(2)
	v_mul_f16_sdwa v50, v42, v31 dst_sel:DWORD dst_unused:UNUSED_PAD src0_sel:DWORD src1_sel:WORD_1
	v_fma_f16 v42, v42, v31, -v55
	ds_read_u16 v55, v17 offset:1904
	ds_read_u16 v57, v25
	ds_read_u16 v59, v23
	v_fma_f16 v44, v60, v31, v44
	v_fma_f16 v45, v61, v31, v45
	v_mul_f16_sdwa v61, v69, v31 dst_sel:DWORD dst_unused:UNUSED_PAD src0_sel:DWORD src1_sel:WORD_1
	s_waitcnt lgkmcnt(3)
	v_mul_f16_sdwa v60, v56, v31 dst_sel:DWORD dst_unused:UNUSED_PAD src0_sel:DWORD src1_sel:WORD_1
	v_fma_f16 v56, v56, v31, -v61
	s_waitcnt lgkmcnt(2)
	v_mul_f16_sdwa v61, v55, v31 dst_sel:DWORD dst_unused:UNUSED_PAD src0_sel:DWORD src1_sel:WORD_1
	v_mul_f16_sdwa v62, v74, v31 dst_sel:DWORD dst_unused:UNUSED_PAD src0_sel:DWORD src1_sel:WORD_1
	v_sub_f16_e32 v44, v58, v44
	v_fma_f16 v46, v64, v31, v46
	v_fma_f16 v47, v65, v31, v47
	;; [unrolled: 1-line block ×7, first 2 shown]
	v_fma_f16 v31, v55, v31, -v62
	v_fma_f16 v55, v58, 2.0, -v44
	ds_read_u16 v58, v11
	ds_read_u16 v62, v13
	s_waitcnt lgkmcnt(0)
	; wave barrier
	s_waitcnt lgkmcnt(0)
	ds_write_b16 v63, v55
	ds_write_b16 v63, v44 offset:8
	v_sub_f16_e32 v44, v73, v45
	v_and_or_b32 v55, v19, s0, v30
	v_fma_f16 v45, v73, 2.0, -v44
	v_lshl_add_u32 v55, v55, 1, 0
	s_movk_i32 s0, 0x1f8
	ds_write_b16 v55, v45
	ds_write_b16 v55, v44 offset:8
	v_sub_f16_e32 v44, v72, v46
	v_and_or_b32 v46, v24, s0, v30
	v_fma_f16 v45, v72, 2.0, -v44
	v_lshl_add_u32 v46, v46, 1, 0
	ds_write_b16 v46, v45
	ds_write_b16 v46, v44 offset:8
	v_sub_f16_e32 v44, v51, v47
	v_and_or_b32 v47, v9, s0, v30
	v_fma_f16 v45, v51, 2.0, -v44
	v_lshl_add_u32 v47, v47, 1, 0
	s_movk_i32 s0, 0x3f8
	ds_write_b16 v47, v45
	v_sub_f16_e32 v45, v52, v48
	ds_write_b16 v47, v44 offset:8
	v_and_or_b32 v44, v8, s0, v30
	v_fma_f16 v48, v52, 2.0, -v45
	v_lshl_add_u32 v44, v44, 1, 0
	v_sub_f16_e32 v49, v53, v49
	ds_write_b16 v44, v48
	ds_write_b16 v44, v45 offset:8
	v_and_or_b32 v45, v0, s1, v30
	v_fma_f16 v51, v53, 2.0, -v49
	v_lshl_add_u32 v45, v45, 1, 0
	v_sub_f16_e32 v36, v43, v36
	v_sub_f16_e32 v50, v54, v50
	;; [unrolled: 1-line block ×4, first 2 shown]
	ds_write_b16 v45, v51
	ds_write_b16 v45, v49 offset:8
	v_and_or_b32 v48, v1, s0, v30
	v_and_or_b32 v49, v6, s0, v30
	;; [unrolled: 1-line block ×3, first 2 shown]
	v_fma_f16 v43, v43, 2.0, -v36
	v_fma_f16 v52, v54, 2.0, -v50
	;; [unrolled: 1-line block ×4, first 2 shown]
	v_lshl_add_u32 v48, v48, 1, 0
	v_lshl_add_u32 v49, v49, 1, 0
	;; [unrolled: 1-line block ×3, first 2 shown]
	ds_write_b16 v48, v52
	ds_write_b16 v48, v50 offset:8
	ds_write_b16 v49, v54
	ds_write_b16 v49, v53 offset:8
	;; [unrolled: 2-line block ×3, first 2 shown]
	s_waitcnt lgkmcnt(0)
	; wave barrier
	s_waitcnt lgkmcnt(0)
	ds_read_u16 v50, v26
	ds_read_u16 v51, v27
	;; [unrolled: 1-line block ×5, first 2 shown]
	ds_read_u16 v60, v17 offset:1008
	ds_read_u16 v61, v17 offset:1120
	;; [unrolled: 1-line block ×8, first 2 shown]
	ds_read_u16 v70, v11
	ds_read_u16 v71, v13
	;; [unrolled: 1-line block ×4, first 2 shown]
	ds_read_u16 v74, v17 offset:1904
	s_waitcnt lgkmcnt(0)
	; wave barrier
	s_waitcnt lgkmcnt(0)
	ds_write_b16 v63, v43
	ds_write_b16 v63, v36 offset:8
	v_sub_f16_e32 v36, v59, v37
	v_fma_f16 v37, v59, 2.0, -v36
	ds_write_b16 v55, v37
	ds_write_b16 v55, v36 offset:8
	v_sub_f16_e32 v36, v57, v38
	v_fma_f16 v37, v57, 2.0, -v36
	;; [unrolled: 4-line block ×4, first 2 shown]
	v_sub_f16_e32 v36, v34, v41
	v_sub_f16_e32 v37, v35, v42
	;; [unrolled: 1-line block ×4, first 2 shown]
	v_fma_f16 v34, v34, 2.0, -v36
	v_fma_f16 v35, v35, 2.0, -v37
	;; [unrolled: 1-line block ×4, first 2 shown]
	ds_write_b16 v44, v33
	ds_write_b16 v44, v32 offset:8
	ds_write_b16 v45, v34
	ds_write_b16 v45, v36 offset:8
	ds_write_b16 v48, v35
	ds_write_b16 v48, v37 offset:8
	ds_write_b16 v49, v39
	ds_write_b16 v49, v38 offset:8
	ds_write_b16 v30, v40
	ds_write_b16 v30, v31 offset:8
	v_and_b32_e32 v30, 7, v14
	v_lshlrev_b32_e32 v31, 2, v30
	s_waitcnt lgkmcnt(0)
	; wave barrier
	s_waitcnt lgkmcnt(0)
	global_load_dword v31, v31, s[4:5] offset:24
	ds_read_u16 v32, v26
	ds_read_u16 v33, v27
	;; [unrolled: 1-line block ×4, first 2 shown]
	ds_read_u16 v36, v17 offset:1008
	ds_read_u16 v37, v17 offset:1120
	;; [unrolled: 1-line block ×7, first 2 shown]
	ds_read_u16 v43, v17
	ds_read_u16 v57, v17 offset:1792
	s_movk_i32 s0, 0x70
	v_and_or_b32 v10, v10, s0, v30
	v_lshl_add_u32 v10, v10, 1, 0
	s_movk_i32 s0, 0xf0
	s_movk_i32 s1, 0x2f0
	v_and_or_b32 v0, v0, s1, v30
	v_lshl_add_u32 v0, v0, 1, 0
	s_waitcnt vmcnt(0) lgkmcnt(8)
	v_mul_f16_sdwa v44, v36, v31 dst_sel:DWORD dst_unused:UNUSED_PAD src0_sel:DWORD src1_sel:WORD_1
	v_mul_f16_sdwa v45, v60, v31 dst_sel:DWORD dst_unused:UNUSED_PAD src0_sel:DWORD src1_sel:WORD_1
	;; [unrolled: 1-line block ×8, first 2 shown]
	v_fma_f16 v44, v60, v31, v44
	v_fma_f16 v36, v36, v31, -v45
	s_waitcnt lgkmcnt(7)
	v_mul_f16_sdwa v45, v37, v31 dst_sel:DWORD dst_unused:UNUSED_PAD src0_sel:DWORD src1_sel:WORD_1
	v_fma_f16 v37, v37, v31, -v46
	s_waitcnt lgkmcnt(6)
	v_mul_f16_sdwa v46, v38, v31 dst_sel:DWORD dst_unused:UNUSED_PAD src0_sel:DWORD src1_sel:WORD_1
	v_fma_f16 v38, v38, v31, -v47
	s_waitcnt lgkmcnt(5)
	v_mul_f16_sdwa v47, v39, v31 dst_sel:DWORD dst_unused:UNUSED_PAD src0_sel:DWORD src1_sel:WORD_1
	v_fma_f16 v39, v39, v31, -v48
	s_waitcnt lgkmcnt(4)
	v_mul_f16_sdwa v48, v40, v31 dst_sel:DWORD dst_unused:UNUSED_PAD src0_sel:DWORD src1_sel:WORD_1
	v_fma_f16 v40, v40, v31, -v49
	s_waitcnt lgkmcnt(3)
	v_mul_f16_sdwa v49, v41, v31 dst_sel:DWORD dst_unused:UNUSED_PAD src0_sel:DWORD src1_sel:WORD_1
	v_fma_f16 v41, v41, v31, -v55
	s_waitcnt lgkmcnt(2)
	v_mul_f16_sdwa v55, v42, v31 dst_sel:DWORD dst_unused:UNUSED_PAD src0_sel:DWORD src1_sel:WORD_1
	v_fma_f16 v42, v42, v31, -v56
	ds_read_u16 v56, v17 offset:1904
	ds_read_u16 v58, v25
	ds_read_u16 v59, v23
	v_fma_f16 v45, v61, v31, v45
	v_sub_f16_e32 v44, v54, v44
	v_mul_f16_sdwa v61, v69, v31 dst_sel:DWORD dst_unused:UNUSED_PAD src0_sel:DWORD src1_sel:WORD_1
	ds_read_u16 v11, v11
	ds_read_u16 v13, v13
	v_fma_f16 v54, v54, 2.0, -v44
	s_waitcnt lgkmcnt(0)
	; wave barrier
	s_waitcnt lgkmcnt(0)
	v_sub_f16_e32 v45, v73, v45
	ds_write_b16 v10, v44 offset:16
	v_and_or_b32 v44, v19, s0, v30
	v_mul_f16_sdwa v60, v57, v31 dst_sel:DWORD dst_unused:UNUSED_PAD src0_sel:DWORD src1_sel:WORD_1
	v_fma_f16 v57, v57, v31, -v61
	v_mul_f16_sdwa v61, v56, v31 dst_sel:DWORD dst_unused:UNUSED_PAD src0_sel:DWORD src1_sel:WORD_1
	ds_write_b16 v10, v54
	v_fma_f16 v54, v73, 2.0, -v45
	v_lshl_add_u32 v44, v44, 1, 0
	s_movk_i32 s0, 0x1f0
	v_fma_f16 v46, v64, v31, v46
	v_fma_f16 v47, v65, v31, v47
	;; [unrolled: 1-line block ×7, first 2 shown]
	ds_write_b16 v44, v54
	ds_write_b16 v44, v45 offset:16
	v_and_or_b32 v45, v24, s0, v30
	v_and_or_b32 v9, v9, s0, v30
	s_movk_i32 s0, 0x3f0
	v_mul_f16_sdwa v62, v74, v31 dst_sel:DWORD dst_unused:UNUSED_PAD src0_sel:DWORD src1_sel:WORD_1
	v_sub_f16_e32 v36, v43, v36
	v_sub_f16_e32 v46, v72, v46
	;; [unrolled: 1-line block ×8, first 2 shown]
	v_and_or_b32 v8, v8, s0, v30
	v_and_or_b32 v1, v1, s0, v30
	;; [unrolled: 1-line block ×4, first 2 shown]
	v_fma_f16 v31, v56, v31, -v62
	v_fma_f16 v43, v43, 2.0, -v36
	v_fma_f16 v56, v72, 2.0, -v46
	;; [unrolled: 1-line block ×8, first 2 shown]
	v_lshl_add_u32 v45, v45, 1, 0
	v_lshl_add_u32 v9, v9, 1, 0
	;; [unrolled: 1-line block ×6, first 2 shown]
	ds_write_b16 v45, v56
	ds_write_b16 v45, v46 offset:16
	ds_write_b16 v9, v50
	ds_write_b16 v9, v47 offset:16
	;; [unrolled: 2-line block ×7, first 2 shown]
	s_waitcnt lgkmcnt(0)
	; wave barrier
	s_waitcnt lgkmcnt(0)
	ds_read_u16 v30, v26
	ds_read_u16 v46, v27
	;; [unrolled: 1-line block ×3, first 2 shown]
	ds_read_u16 v48, v17 offset:784
	ds_read_u16 v49, v17 offset:896
	;; [unrolled: 1-line block ×7, first 2 shown]
	ds_read_u16 v55, v29
	ds_read_u16 v56, v28
	ds_read_u16 v60, v17 offset:1456
	ds_read_u16 v61, v17 offset:1344
	;; [unrolled: 1-line block ×3, first 2 shown]
	ds_read_u16 v63, v25
	ds_read_u16 v64, v23
	ds_read_u16 v65, v17 offset:1904
	s_waitcnt lgkmcnt(0)
	; wave barrier
	s_waitcnt lgkmcnt(0)
	ds_write_b16 v10, v43
	ds_write_b16 v10, v36 offset:16
	v_sub_f16_e32 v10, v59, v37
	v_sub_f16_e32 v31, v13, v31
	v_fma_f16 v36, v59, 2.0, -v10
	v_sub_f16_e32 v37, v58, v38
	v_sub_f16_e32 v39, v32, v39
	;; [unrolled: 1-line block ×6, first 2 shown]
	v_fma_f16 v13, v13, 2.0, -v31
	v_fma_f16 v38, v58, 2.0, -v37
	;; [unrolled: 1-line block ×7, first 2 shown]
	ds_write_b16 v44, v36
	ds_write_b16 v44, v10 offset:16
	ds_write_b16 v45, v38
	ds_write_b16 v45, v37 offset:16
	;; [unrolled: 2-line block ×8, first 2 shown]
	v_and_b32_e32 v13, 15, v16
	v_and_b32_e32 v31, 15, v12
	v_lshlrev_b32_e32 v0, 3, v13
	v_lshlrev_b32_e32 v6, 3, v31
	s_waitcnt lgkmcnt(0)
	; wave barrier
	s_waitcnt lgkmcnt(0)
	global_load_dwordx2 v[0:1], v0, s[4:5] offset:56
	v_and_b32_e32 v34, 15, v21
	global_load_dwordx2 v[6:7], v6, s[4:5] offset:56
	v_and_b32_e32 v32, 15, v14
	v_lshlrev_b32_e32 v35, 3, v34
	v_lshlrev_b32_e32 v33, 3, v32
	global_load_dwordx2 v[8:9], v35, s[4:5] offset:56
	global_load_dwordx2 v[10:11], v33, s[4:5] offset:56
	ds_read_u16 v33, v26
	ds_read_u16 v35, v27
	ds_read_u16 v36, v17 offset:784
	ds_read_u16 v37, v17 offset:896
	;; [unrolled: 1-line block ×7, first 2 shown]
	ds_read_u16 v43, v17
	v_cmp_gt_u32_e64 s[0:1], 48, v14
	s_waitcnt vmcnt(3) lgkmcnt(7)
	v_mul_f16_sdwa v44, v36, v0 dst_sel:DWORD dst_unused:UNUSED_PAD src0_sel:DWORD src1_sel:WORD_1
	v_mul_f16_sdwa v45, v48, v0 dst_sel:DWORD dst_unused:UNUSED_PAD src0_sel:DWORD src1_sel:WORD_1
	s_waitcnt vmcnt(2) lgkmcnt(5)
	v_mul_f16_sdwa v57, v38, v6 dst_sel:DWORD dst_unused:UNUSED_PAD src0_sel:DWORD src1_sel:WORD_1
	v_fma_f16 v44, v48, v0, v44
	v_fma_f16 v0, v36, v0, -v45
	s_waitcnt lgkmcnt(3)
	v_mul_f16_sdwa v36, v40, v1 dst_sel:DWORD dst_unused:UNUSED_PAD src0_sel:DWORD src1_sel:WORD_1
	v_mul_f16_sdwa v45, v60, v1 dst_sel:DWORD dst_unused:UNUSED_PAD src0_sel:DWORD src1_sel:WORD_1
	v_fma_f16 v57, v50, v6, v57
	v_mul_f16_sdwa v50, v50, v6 dst_sel:DWORD dst_unused:UNUSED_PAD src0_sel:DWORD src1_sel:WORD_1
	v_fma_f16 v36, v60, v1, v36
	v_fma_f16 v1, v40, v1, -v45
	ds_read_u16 v40, v17 offset:1680
	ds_read_u16 v45, v17 offset:1792
	;; [unrolled: 1-line block ×3, first 2 shown]
	v_fma_f16 v6, v38, v6, -v50
	ds_read_u16 v38, v25
	ds_read_u16 v50, v23
	ds_read_u16 v58, v17 offset:1568
	ds_read_u16 v60, v29
	s_waitcnt lgkmcnt(6)
	v_mul_f16_sdwa v59, v40, v7 dst_sel:DWORD dst_unused:UNUSED_PAD src0_sel:DWORD src1_sel:WORD_1
	v_fma_f16 v59, v53, v7, v59
	v_mul_f16_sdwa v53, v53, v7 dst_sel:DWORD dst_unused:UNUSED_PAD src0_sel:DWORD src1_sel:WORD_1
	v_fma_f16 v7, v40, v7, -v53
	ds_read_u16 v40, v28
	s_waitcnt vmcnt(0) lgkmcnt(1)
	v_mul_f16_sdwa v53, v60, v10 dst_sel:DWORD dst_unused:UNUSED_PAD src0_sel:DWORD src1_sel:WORD_1
	v_fma_f16 v53, v55, v10, v53
	v_mul_f16_sdwa v55, v55, v10 dst_sel:DWORD dst_unused:UNUSED_PAD src0_sel:DWORD src1_sel:WORD_1
	v_fma_f16 v55, v60, v10, -v55
	v_mul_f16_sdwa v60, v41, v11 dst_sel:DWORD dst_unused:UNUSED_PAD src0_sel:DWORD src1_sel:WORD_1
	v_fma_f16 v60, v61, v11, v60
	v_mul_f16_sdwa v61, v61, v11 dst_sel:DWORD dst_unused:UNUSED_PAD src0_sel:DWORD src1_sel:WORD_1
	v_fma_f16 v41, v41, v11, -v61
	;; [unrolled: 4-line block ×5, first 2 shown]
	v_mul_f16_sdwa v39, v45, v11 dst_sel:DWORD dst_unused:UNUSED_PAD src0_sel:DWORD src1_sel:WORD_1
	v_mul_f16_sdwa v51, v54, v11 dst_sel:DWORD dst_unused:UNUSED_PAD src0_sel:DWORD src1_sel:WORD_1
	v_fma_f16 v39, v54, v11, v39
	v_fma_f16 v11, v45, v11, -v51
	v_mul_f16_sdwa v45, v42, v8 dst_sel:DWORD dst_unused:UNUSED_PAD src0_sel:DWORD src1_sel:WORD_1
	v_mul_f16_sdwa v51, v62, v8 dst_sel:DWORD dst_unused:UNUSED_PAD src0_sel:DWORD src1_sel:WORD_1
	v_fma_f16 v45, v62, v8, v45
	v_fma_f16 v8, v42, v8, -v51
	v_mul_f16_sdwa v42, v48, v9 dst_sel:DWORD dst_unused:UNUSED_PAD src0_sel:DWORD src1_sel:WORD_1
	v_mul_f16_sdwa v51, v65, v9 dst_sel:DWORD dst_unused:UNUSED_PAD src0_sel:DWORD src1_sel:WORD_1
	v_fma_f16 v42, v65, v9, v42
	v_fma_f16 v9, v48, v9, -v51
	v_add_f16_e32 v51, v53, v60
	v_add_f16_e32 v48, v47, v53
	v_fma_f16 v47, v51, -0.5, v47
	v_sub_f16_e32 v51, v55, v41
	v_fma_f16 v54, v51, s8, v47
	v_fma_f16 v47, v51, s9, v47
	v_add_f16_e32 v51, v43, v55
	v_add_f16_e32 v51, v51, v41
	;; [unrolled: 1-line block ×5, first 2 shown]
	v_fma_f16 v41, v41, -0.5, v43
	v_sub_f16_e32 v43, v53, v60
	v_fma_f16 v55, v55, -0.5, v64
	v_sub_f16_e32 v60, v0, v1
	v_fma_f16 v62, v60, s8, v55
	v_fma_f16 v55, v60, s9, v55
	v_add_f16_e32 v60, v50, v0
	v_fma_f16 v53, v43, s9, v41
	v_fma_f16 v41, v43, s8, v41
	v_add_f16_e32 v43, v64, v44
	v_add_f16_e32 v60, v60, v1
	;; [unrolled: 1-line block ×3, first 2 shown]
	v_sub_f16_e32 v1, v44, v36
	v_add_f16_e32 v44, v61, v49
	v_fma_f16 v0, v0, -0.5, v50
	v_fma_f16 v44, v44, -0.5, v63
	v_sub_f16_e32 v50, v37, v52
	v_add_f16_e32 v43, v43, v36
	v_fma_f16 v36, v1, s9, v0
	v_fma_f16 v0, v1, s8, v0
	v_add_f16_e32 v1, v63, v61
	v_fma_f16 v63, v50, s8, v44
	v_fma_f16 v44, v50, s9, v44
	v_add_f16_e32 v50, v38, v37
	v_add_f16_e32 v37, v37, v52
	;; [unrolled: 1-line block ×3, first 2 shown]
	v_fma_f16 v37, v37, -0.5, v38
	v_sub_f16_e32 v38, v61, v49
	v_add_f16_e32 v52, v57, v59
	v_add_f16_e32 v1, v1, v49
	v_fma_f16 v49, v38, s9, v37
	v_fma_f16 v37, v38, s8, v37
	v_add_f16_e32 v38, v30, v57
	v_fma_f16 v30, v52, -0.5, v30
	v_sub_f16_e32 v52, v6, v7
	v_fma_f16 v61, v52, s8, v30
	v_fma_f16 v30, v52, s9, v30
	v_add_f16_e32 v52, v33, v6
	v_add_f16_e32 v6, v6, v7
	;; [unrolled: 1-line block ×3, first 2 shown]
	v_fma_f16 v6, v6, -0.5, v33
	v_sub_f16_e32 v7, v57, v59
	v_add_f16_e32 v57, v58, v39
	v_fma_f16 v33, v7, s9, v6
	v_fma_f16 v6, v7, s8, v6
	v_add_f16_e32 v7, v46, v58
	v_fma_f16 v46, v57, -0.5, v46
	v_sub_f16_e32 v57, v10, v11
	v_add_f16_e32 v38, v38, v59
	v_fma_f16 v59, v57, s8, v46
	v_fma_f16 v46, v57, s9, v46
	v_add_f16_e32 v57, v35, v10
	v_add_f16_e32 v10, v10, v11
	;; [unrolled: 1-line block ×4, first 2 shown]
	v_fma_f16 v10, v10, -0.5, v35
	v_sub_f16_e32 v11, v58, v39
	v_add_f16_e32 v39, v45, v42
	v_fma_f16 v35, v11, s9, v10
	v_fma_f16 v10, v11, s8, v10
	v_add_f16_e32 v11, v56, v45
	v_fma_f16 v39, v39, -0.5, v56
	v_sub_f16_e32 v56, v8, v9
	v_fma_f16 v58, v56, s8, v39
	v_fma_f16 v39, v56, s9, v39
	s_waitcnt lgkmcnt(0)
	v_add_f16_e32 v56, v40, v8
	v_add_f16_e32 v11, v11, v42
	;; [unrolled: 1-line block ×4, first 2 shown]
	v_sub_f16_e32 v9, v45, v42
	v_lshrrev_b32_e32 v42, 4, v16
	v_fma_f16 v8, v8, -0.5, v40
	v_mul_lo_u32 v42, v42, 48
	v_fma_f16 v40, v9, s9, v8
	v_fma_f16 v8, v9, s8, v8
	v_lshrrev_b32_e32 v9, 4, v14
	v_or_b32_e32 v13, v42, v13
	v_lshrrev_b32_e32 v42, 4, v15
	v_mul_u32_u24_e32 v9, 48, v9
	v_mul_lo_u32 v42, v42, 48
	v_or_b32_e32 v9, v9, v32
	v_or_b32_e32 v42, v42, v32
	v_lshl_add_u32 v9, v9, 1, 0
	v_lshl_add_u32 v13, v13, 1, 0
	;; [unrolled: 1-line block ×3, first 2 shown]
	s_waitcnt lgkmcnt(0)
	; wave barrier
	ds_write_b16 v9, v48
	ds_write_b16 v9, v54 offset:32
	ds_write_b16 v9, v47 offset:64
	ds_write_b16 v13, v43
	ds_write_b16 v13, v62 offset:32
	ds_write_b16 v13, v55 offset:64
	;; [unrolled: 3-line block ×3, first 2 shown]
	v_lshrrev_b32_e32 v1, 4, v12
	v_mul_lo_u32 v1, v1, 48
	v_or_b32_e32 v1, v1, v31
	v_lshl_add_u32 v1, v1, 1, 0
	ds_write_b16 v1, v38
	ds_write_b16 v1, v61 offset:32
	ds_write_b16 v1, v30 offset:64
	v_lshrrev_b32_e32 v30, 4, v20
	v_mul_lo_u32 v30, v30, 48
	v_or_b32_e32 v30, v30, v32
	v_lshl_add_u32 v30, v30, 1, 0
	ds_write_b16 v30, v7
	ds_write_b16 v30, v59 offset:32
	ds_write_b16 v30, v46 offset:64
	;; [unrolled: 7-line block ×3, first 2 shown]
	s_waitcnt lgkmcnt(0)
	; wave barrier
	s_waitcnt lgkmcnt(0)
	ds_read_u16 v66, v26
	ds_read_u16 v67, v27
	;; [unrolled: 1-line block ×3, first 2 shown]
	ds_read_u16 v32, v17 offset:784
	ds_read_u16 v46, v17 offset:896
	;; [unrolled: 1-line block ×7, first 2 shown]
	ds_read_u16 v38, v29
	ds_read_u16 v68, v28
	ds_read_u16 v39, v17 offset:1456
	ds_read_u16 v43, v17 offset:1344
	;; [unrolled: 1-line block ×3, first 2 shown]
	ds_read_u16 v69, v25
	ds_read_u16 v65, v23
	ds_read_u16 v70, v17 offset:1904
	s_waitcnt lgkmcnt(0)
	; wave barrier
	s_waitcnt lgkmcnt(0)
	ds_write_b16 v9, v51
	ds_write_b16 v9, v53 offset:32
	ds_write_b16 v9, v41 offset:64
	ds_write_b16 v13, v60
	ds_write_b16 v13, v36 offset:32
	ds_write_b16 v13, v0 offset:64
	ds_write_b16 v42, v50
	ds_write_b16 v42, v49 offset:32
	ds_write_b16 v42, v37 offset:64
	ds_write_b16 v1, v52
	ds_write_b16 v1, v33 offset:32
	ds_write_b16 v1, v6 offset:64
	ds_write_b16 v30, v57
	ds_write_b16 v30, v35 offset:32
	ds_write_b16 v30, v10 offset:64
	ds_write_b16 v7, v56
	ds_write_b16 v7, v40 offset:32
	ds_write_b16 v7, v8 offset:64
	v_subrev_u32_e32 v0, 48, v14
	v_cndmask_b32_e64 v0, v0, v14, s[0:1]
	v_lshlrev_b32_e32 v0, 1, v0
	v_mov_b32_e32 v1, 0
	v_lshl_add_u64 v[6:7], v[0:1], 2, s[4:5]
	s_movk_i32 s0, 0xab
	s_waitcnt lgkmcnt(0)
	; wave barrier
	s_waitcnt lgkmcnt(0)
	global_load_dwordx2 v[6:7], v[6:7], off offset:184
	v_mul_lo_u16_sdwa v1, v16, s0 dst_sel:DWORD dst_unused:UNUSED_PAD src0_sel:BYTE_0 src1_sel:DWORD
	v_lshrrev_b16_e32 v33, 13, v1
	v_mul_lo_u16_e32 v1, 48, v33
	v_sub_u16_e32 v37, v16, v1
	v_mov_b32_e32 v1, 3
	v_lshlrev_b32_sdwa v8, v1, v37 dst_sel:DWORD dst_unused:UNUSED_PAD src0_sel:DWORD src1_sel:BYTE_0
	global_load_dwordx2 v[10:11], v8, s[4:5] offset:184
	v_mul_lo_u16_sdwa v8, v15, s0 dst_sel:DWORD dst_unused:UNUSED_PAD src0_sel:BYTE_0 src1_sel:DWORD
	v_lshrrev_b16_e32 v40, 13, v8
	v_mul_lo_u16_e32 v8, 48, v40
	v_sub_u16_e32 v41, v15, v8
	v_mul_lo_u16_sdwa v13, v12, s0 dst_sel:DWORD dst_unused:UNUSED_PAD src0_sel:BYTE_0 src1_sel:DWORD
	v_lshlrev_b32_sdwa v8, v1, v41 dst_sel:DWORD dst_unused:UNUSED_PAD src0_sel:DWORD src1_sel:BYTE_0
	v_lshrrev_b16_e32 v71, 13, v13
	global_load_dwordx2 v[8:9], v8, s[4:5] offset:184
	v_mul_lo_u16_e32 v13, 48, v71
	v_sub_u16_e32 v60, v12, v13
	v_lshlrev_b32_sdwa v1, v1, v60 dst_sel:DWORD dst_unused:UNUSED_PAD src0_sel:DWORD src1_sel:BYTE_0
	global_load_dwordx2 v[12:13], v1, s[4:5] offset:184
	s_mov_b32 s0, 0xaaab
	v_mul_u32_u24_sdwa v1, v20, s0 dst_sel:DWORD dst_unused:UNUSED_PAD src0_sel:WORD_0 src1_sel:DWORD
	v_lshrrev_b32_e32 v72, 21, v1
	v_mul_lo_u16_e32 v1, 48, v72
	v_sub_u16_e32 v73, v20, v1
	v_lshlrev_b32_e32 v1, 3, v73
	global_load_dwordx2 v[30:31], v1, s[4:5] offset:184
	v_mul_u32_u24_sdwa v1, v21, s0 dst_sel:DWORD dst_unused:UNUSED_PAD src0_sel:WORD_0 src1_sel:DWORD
	v_lshrrev_b32_e32 v74, 21, v1
	v_mul_lo_u16_e32 v1, 48, v74
	v_sub_u16_e32 v75, v21, v1
	v_lshlrev_b32_e32 v1, 3, v75
	global_load_dwordx2 v[34:35], v1, s[4:5] offset:184
	ds_read_u16 v21, v29
	ds_read_u16 v29, v17 offset:1456
	ds_read_u16 v42, v17 offset:1344
	ds_read_u16 v1, v28
	v_cmp_lt_u32_e64 s[0:1], 47, v14
	s_waitcnt vmcnt(5) lgkmcnt(3)
	v_mul_f16_sdwa v20, v21, v6 dst_sel:DWORD dst_unused:UNUSED_PAD src0_sel:DWORD src1_sel:WORD_1
	v_mul_f16_sdwa v28, v38, v6 dst_sel:DWORD dst_unused:UNUSED_PAD src0_sel:DWORD src1_sel:WORD_1
	v_fma_f16 v20, v38, v6, v20
	v_fma_f16 v21, v21, v6, -v28
	ds_read_u16 v6, v17 offset:896
	ds_read_u16 v28, v17 offset:1008
	;; [unrolled: 1-line block ×5, first 2 shown]
	ds_read_u16 v47, v17
	s_waitcnt lgkmcnt(7)
	v_mul_f16_sdwa v36, v42, v7 dst_sel:DWORD dst_unused:UNUSED_PAD src0_sel:DWORD src1_sel:WORD_1
	v_mul_f16_sdwa v38, v43, v7 dst_sel:DWORD dst_unused:UNUSED_PAD src0_sel:DWORD src1_sel:WORD_1
	v_fma_f16 v36, v43, v7, v36
	v_fma_f16 v43, v42, v7, -v38
	s_waitcnt vmcnt(4) lgkmcnt(1)
	v_mul_f16_sdwa v7, v44, v10 dst_sel:DWORD dst_unused:UNUSED_PAD src0_sel:DWORD src1_sel:WORD_1
	v_fma_f16 v38, v32, v10, v7
	v_mul_f16_sdwa v7, v32, v10 dst_sel:DWORD dst_unused:UNUSED_PAD src0_sel:DWORD src1_sel:WORD_1
	v_fma_f16 v44, v44, v10, -v7
	v_mul_f16_sdwa v7, v29, v11 dst_sel:DWORD dst_unused:UNUSED_PAD src0_sel:DWORD src1_sel:WORD_1
	v_fma_f16 v45, v39, v11, v7
	v_mul_f16_sdwa v7, v39, v11 dst_sel:DWORD dst_unused:UNUSED_PAD src0_sel:DWORD src1_sel:WORD_1
	v_fma_f16 v48, v29, v11, -v7
	s_waitcnt vmcnt(3)
	v_mul_f16_sdwa v7, v6, v8 dst_sel:DWORD dst_unused:UNUSED_PAD src0_sel:DWORD src1_sel:WORD_1
	v_fma_f16 v39, v46, v8, v7
	v_mul_f16_sdwa v7, v46, v8 dst_sel:DWORD dst_unused:UNUSED_PAD src0_sel:DWORD src1_sel:WORD_1
	v_fma_f16 v46, v6, v8, -v7
	ds_read_u16 v6, v17 offset:1568
	ds_read_u16 v7, v17 offset:1680
	;; [unrolled: 1-line block ×4, first 2 shown]
	ds_read_u16 v42, v26
	ds_read_u16 v32, v27
	;; [unrolled: 1-line block ×4, first 2 shown]
	s_waitcnt lgkmcnt(7)
	v_mul_f16_sdwa v11, v6, v9 dst_sel:DWORD dst_unused:UNUSED_PAD src0_sel:DWORD src1_sel:WORD_1
	v_fma_f16 v51, v55, v9, v11
	v_mul_f16_sdwa v11, v55, v9 dst_sel:DWORD dst_unused:UNUSED_PAD src0_sel:DWORD src1_sel:WORD_1
	v_fma_f16 v55, v6, v9, -v11
	s_waitcnt vmcnt(2)
	v_mul_f16_sdwa v6, v28, v12 dst_sel:DWORD dst_unused:UNUSED_PAD src0_sel:DWORD src1_sel:WORD_1
	v_fma_f16 v49, v54, v12, v6
	v_mul_f16_sdwa v6, v54, v12 dst_sel:DWORD dst_unused:UNUSED_PAD src0_sel:DWORD src1_sel:WORD_1
	v_fma_f16 v52, v28, v12, -v6
	s_waitcnt lgkmcnt(6)
	v_mul_f16_sdwa v6, v7, v13 dst_sel:DWORD dst_unused:UNUSED_PAD src0_sel:DWORD src1_sel:WORD_1
	v_fma_f16 v53, v59, v13, v6
	v_mul_f16_sdwa v6, v59, v13 dst_sel:DWORD dst_unused:UNUSED_PAD src0_sel:DWORD src1_sel:WORD_1
	v_fma_f16 v56, v7, v13, -v6
	v_mov_b32_e32 v6, 1
	v_lshlrev_b32_sdwa v9, v6, v37 dst_sel:DWORD dst_unused:UNUSED_PAD src0_sel:DWORD src1_sel:BYTE_0
	v_lshlrev_b32_sdwa v11, v6, v41 dst_sel:DWORD dst_unused:UNUSED_PAD src0_sel:DWORD src1_sel:BYTE_0
	;; [unrolled: 1-line block ×3, first 2 shown]
	s_waitcnt vmcnt(1)
	v_mul_f16_sdwa v6, v62, v30 dst_sel:DWORD dst_unused:UNUSED_PAD src0_sel:DWORD src1_sel:WORD_1
	v_fma_f16 v13, v58, v30, v6
	v_mul_f16_sdwa v6, v58, v30 dst_sel:DWORD dst_unused:UNUSED_PAD src0_sel:DWORD src1_sel:WORD_1
	v_fma_f16 v58, v62, v30, -v6
	s_waitcnt lgkmcnt(5)
	v_mul_f16_sdwa v6, v8, v31 dst_sel:DWORD dst_unused:UNUSED_PAD src0_sel:DWORD src1_sel:WORD_1
	v_fma_f16 v59, v61, v31, v6
	v_mul_f16_sdwa v6, v61, v31 dst_sel:DWORD dst_unused:UNUSED_PAD src0_sel:DWORD src1_sel:WORD_1
	v_fma_f16 v62, v8, v31, -v6
	s_waitcnt vmcnt(0)
	v_mul_f16_sdwa v6, v76, v34 dst_sel:DWORD dst_unused:UNUSED_PAD src0_sel:DWORD src1_sel:WORD_1
	v_fma_f16 v54, v63, v34, v6
	v_mul_f16_sdwa v6, v63, v34 dst_sel:DWORD dst_unused:UNUSED_PAD src0_sel:DWORD src1_sel:WORD_1
	v_fma_f16 v60, v76, v34, -v6
	s_waitcnt lgkmcnt(4)
	v_mul_f16_sdwa v6, v10, v35 dst_sel:DWORD dst_unused:UNUSED_PAD src0_sel:DWORD src1_sel:WORD_1
	v_fma_f16 v61, v70, v35, v6
	v_mul_f16_sdwa v6, v70, v35 dst_sel:DWORD dst_unused:UNUSED_PAD src0_sel:DWORD src1_sel:WORD_1
	v_fma_f16 v63, v10, v35, -v6
	v_add_f16_e32 v6, v20, v36
	v_fma_f16 v6, v6, -0.5, v64
	v_sub_f16_e32 v7, v21, v43
	v_fma_f16 v10, v7, s8, v6
	v_fma_f16 v25, v7, s9, v6
	v_add_f16_e32 v6, v38, v45
	v_fma_f16 v6, v6, -0.5, v65
	v_sub_f16_e32 v7, v44, v48
	v_fma_f16 v26, v7, s8, v6
	v_fma_f16 v27, v7, s9, v6
	v_mov_b32_e32 v6, 0x120
	v_cndmask_b32_e64 v6, 0, v6, s[0:1]
	v_add3_u32 v0, 0, v6, v0
	v_add_f16_e32 v6, v39, v51
	v_fma_f16 v6, v6, -0.5, v69
	v_sub_f16_e32 v7, v46, v55
	v_fma_f16 v28, v7, s8, v6
	v_fma_f16 v29, v7, s9, v6
	v_add_f16_e32 v6, v49, v53
	v_fma_f16 v6, v6, -0.5, v66
	v_sub_f16_e32 v7, v52, v56
	v_fma_f16 v30, v7, s8, v6
	v_fma_f16 v31, v7, s9, v6
	;; [unrolled: 5-line block ×4, first 2 shown]
	v_add_f16_e32 v35, v64, v20
	v_add_f16_e32 v35, v35, v36
	s_waitcnt lgkmcnt(0)
	; wave barrier
	s_waitcnt lgkmcnt(0)
	ds_write_b16 v0, v35
	ds_write_b16 v0, v10 offset:96
	ds_write_b16 v0, v25 offset:192
	v_mul_u32_u24_e32 v10, 0x120, v33
	v_add3_u32 v64, 0, v10, v9
	v_add_f16_e32 v9, v65, v38
	v_add_f16_e32 v9, v9, v45
	ds_write_b16 v64, v9
	ds_write_b16 v64, v26 offset:96
	ds_write_b16 v64, v27 offset:192
	v_mul_u32_u24_e32 v9, 0x120, v40
	v_add3_u32 v65, 0, v9, v11
	v_add_f16_e32 v9, v69, v39
	v_add_f16_e32 v25, v9, v51
	;; [unrolled: 1-line block ×5, first 2 shown]
	ds_write_b16 v65, v25
	ds_write_b16 v65, v28 offset:96
	ds_write_b16 v65, v29 offset:192
	v_mul_u32_u24_e32 v25, 0x120, v71
	v_lshlrev_b32_e32 v11, 1, v73
	v_add_f16_e32 v27, v9, v59
	v_add_f16_e32 v9, v68, v54
	v_add3_u32 v68, 0, v25, v12
	v_mul_u32_u24_e32 v12, 0x120, v72
	v_sub_u32_e32 v10, 0, v24
	v_lshlrev_b32_e32 v24, 1, v75
	v_add3_u32 v69, 0, v12, v11
	v_mul_u32_u24_e32 v11, 0x120, v74
	v_add_f16_e32 v9, v9, v61
	v_add3_u32 v70, 0, v11, v24
	ds_write_b16 v68, v26
	ds_write_b16 v68, v30 offset:96
	ds_write_b16 v68, v31 offset:192
	ds_write_b16 v69, v27
	ds_write_b16 v69, v34 offset:96
	ds_write_b16 v69, v6 offset:192
	;; [unrolled: 3-line block ×3, first 2 shown]
	s_waitcnt lgkmcnt(0)
	; wave barrier
	s_waitcnt lgkmcnt(0)
	ds_read_u16 v24, v17
	ds_read_u16 v26, v17 offset:288
	ds_read_u16 v25, v17 offset:1152
	;; [unrolled: 1-line block ×7, first 2 shown]
	ds_read_u16 v31, v23
	ds_read_u16 v40, v17 offset:1840
	ds_read_u16 v30, v17 offset:1728
	;; [unrolled: 1-line block ×5, first 2 shown]
	v_add_u32_e32 v66, v22, v10
	v_sub_u32_e32 v22, 0, v19
	v_cmp_gt_u32_e64 s[0:1], 32, v14
	v_lshl_add_u32 v67, v14, 1, 0
                                        ; implicit-def: $vgpr10
                                        ; implicit-def: $vgpr11
                                        ; implicit-def: $vgpr12
	s_and_saveexec_b64 s[6:7], s[0:1]
	s_cbranch_execz .LBB0_15
; %bb.14:
	ds_read_u16 v7, v17 offset:800
	ds_read_u16 v10, v17 offset:1376
	;; [unrolled: 1-line block ×5, first 2 shown]
	ds_read_u16 v6, v66
	ds_read_u16 v11, v17 offset:1952
.LBB0_15:
	s_or_b64 exec, exec, s[6:7]
	v_add_f16_e32 v19, v47, v21
	v_add_f16_e32 v23, v19, v43
	v_add_f16_e32 v19, v21, v43
	v_fma_f16 v19, v19, -0.5, v47
	v_sub_f16_e32 v20, v20, v36
	v_fma_f16 v36, v20, s9, v19
	v_fma_f16 v43, v20, s8, v19
	v_add_f16_e32 v19, v57, v44
	v_add_f16_e32 v47, v19, v48
	v_add_f16_e32 v19, v44, v48
	v_fma_f16 v19, v19, -0.5, v57
	v_sub_f16_e32 v20, v38, v45
	v_fma_f16 v38, v20, s9, v19
	v_fma_f16 v44, v20, s8, v19
	;; [unrolled: 7-line block ×6, first 2 shown]
	s_waitcnt lgkmcnt(0)
	; wave barrier
	s_waitcnt lgkmcnt(0)
	ds_write_b16 v0, v23
	ds_write_b16 v0, v36 offset:96
	ds_write_b16 v0, v43 offset:192
	ds_write_b16 v64, v47
	ds_write_b16 v64, v38 offset:96
	ds_write_b16 v64, v44 offset:192
	;; [unrolled: 3-line block ×6, first 2 shown]
	s_waitcnt lgkmcnt(0)
	; wave barrier
	s_waitcnt lgkmcnt(0)
	ds_read_u16 v32, v17
	ds_read_u16 v36, v17 offset:288
	v_add_u32_e32 v0, v18, v22
	ds_read_u16 v39, v17 offset:1152
	ds_read_u16 v47, v17 offset:976
	;; [unrolled: 1-line block ×6, first 2 shown]
	ds_read_u16 v45, v0
	ds_read_u16 v50, v17 offset:1840
	ds_read_u16 v44, v17 offset:1728
	ds_read_u16 v49, v17 offset:1552
	ds_read_u16 v43, v17 offset:1440
	ds_read_u16 v51, v17 offset:1264
                                        ; implicit-def: $vgpr18
                                        ; implicit-def: $vgpr22
                                        ; implicit-def: $vgpr23
	s_and_saveexec_b64 s[6:7], s[0:1]
	s_cbranch_execz .LBB0_17
; %bb.16:
	ds_read_u16 v19, v17 offset:800
	ds_read_u16 v18, v17 offset:1376
	;; [unrolled: 1-line block ×5, first 2 shown]
	ds_read_u16 v13, v66
	ds_read_u16 v22, v17 offset:1952
.LBB0_17:
	s_or_b64 exec, exec, s[6:7]
	s_and_saveexec_b64 s[6:7], vcc
	s_cbranch_execz .LBB0_20
; %bb.18:
	v_mul_i32_i24_e32 v0, 6, v16
	v_mov_b32_e32 v1, 0
	v_lshl_add_u64 v[16:17], v[0:1], 2, s[4:5]
	global_load_dwordx4 v[52:55], v[16:17], off offset:568
	global_load_dwordx2 v[60:61], v[16:17], off offset:584
	v_mul_lo_u32 v0, s3, v4
	v_mul_lo_u32 v16, s2, v5
	v_mad_u64_u32 v[4:5], s[2:3], s2, v4, 0
	v_mul_u32_u24_e32 v17, 6, v14
	v_add3_u32 v5, v5, v16, v0
	v_lshlrev_b32_e32 v0, 2, v17
	global_load_dwordx4 v[56:59], v0, s[4:5] offset:568
	global_load_dwordx2 v[16:17], v0, s[4:5] offset:584
	s_mov_b32 s3, 0xb574
	s_movk_i32 s9, 0x3574
	s_movk_i32 s14, 0x3a52
	s_mov_b32 s6, 0xbcab
	s_mov_b32 s8, 0xbb00
	;; [unrolled: 1-line block ×3, first 2 shown]
	s_movk_i32 s13, 0x39e0
	s_mov_b32 s2, 0xb70e
	s_mov_b32 s18, 0x38e38e39
	s_movk_i32 s19, 0x90
	v_lshl_add_u64 v[4:5], v[4:5], 2, s[10:11]
	v_lshl_add_u64 v[2:3], v[2:3], 2, v[4:5]
	s_movk_i32 s7, 0x2b26
	s_waitcnt vmcnt(3) lgkmcnt(6)
	v_mul_f16_sdwa v0, v48, v52 dst_sel:DWORD dst_unused:UNUSED_PAD src0_sel:DWORD src1_sel:WORD_1
	s_waitcnt vmcnt(2) lgkmcnt(4)
	v_mul_f16_sdwa v62, v50, v61 dst_sel:DWORD dst_unused:UNUSED_PAD src0_sel:DWORD src1_sel:WORD_1
	s_waitcnt lgkmcnt(0)
	v_mul_f16_sdwa v63, v51, v55 dst_sel:DWORD dst_unused:UNUSED_PAD src0_sel:DWORD src1_sel:WORD_1
	v_mul_f16_sdwa v64, v47, v54 dst_sel:DWORD dst_unused:UNUSED_PAD src0_sel:DWORD src1_sel:WORD_1
	;; [unrolled: 1-line block ×10, first 2 shown]
	v_fma_f16 v0, v35, v52, v0
	v_fma_f16 v35, v40, v61, v62
	;; [unrolled: 1-line block ×6, first 2 shown]
	v_fma_f16 v41, v50, v61, -v67
	v_fma_f16 v48, v48, v52, -v68
	v_fma_f16 v47, v47, v54, -v69
	v_fma_f16 v50, v51, v55, -v70
	v_fma_f16 v49, v49, v60, -v71
	v_fma_f16 v46, v46, v53, -v72
	v_sub_f16_e32 v52, v40, v33
	v_sub_f16_e32 v53, v34, v37
	;; [unrolled: 1-line block ×3, first 2 shown]
	v_add_f16_e32 v54, v48, v41
	v_add_f16_e32 v55, v50, v47
	;; [unrolled: 1-line block ×6, first 2 shown]
	v_sub_f16_e32 v35, v48, v41
	v_sub_f16_e32 v37, v50, v47
	;; [unrolled: 1-line block ×3, first 2 shown]
	v_add_f16_e32 v47, v52, v53
	v_sub_f16_e32 v41, v51, v52
	v_sub_f16_e32 v46, v52, v53
	v_add_f16_e32 v50, v54, v60
	v_add_f16_e32 v62, v0, v34
	v_sub_f16_e32 v63, v35, v37
	v_sub_f16_e32 v64, v37, v40
	v_add_f16_e32 v37, v37, v40
	v_add_f16_e32 v47, v51, v47
	v_sub_f16_e32 v51, v53, v51
	v_sub_f16_e32 v48, v54, v55
	;; [unrolled: 1-line block ×5, first 2 shown]
	v_mul_f16_e32 v46, 0x3846, v46
	v_add_f16_e32 v50, v55, v50
	v_add_f16_e32 v33, v33, v62
	v_add_f16_e32 v37, v35, v37
	v_mul_f16_e32 v53, 0xbb00, v51
	v_sub_f16_e32 v35, v40, v35
	v_mul_f16_e32 v65, 0x3a52, v48
	v_mul_f16_e32 v49, 0x2b26, v49
	;; [unrolled: 1-line block ×5, first 2 shown]
	v_fma_f16 v64, v41, s3, v46
	v_add_f16_e32 v45, v45, v50
	v_add_f16_e32 v31, v31, v33
	v_fma_f16 v41, v41, s9, -v53
	v_sub_f16_e32 v53, v60, v54
	v_sub_f16_e32 v0, v34, v0
	v_mul_f16_e32 v40, 0xbb00, v35
	v_fma_f16 v48, v48, s14, v49
	v_fma_f16 v50, v50, s6, v45
	;; [unrolled: 1-line block ×3, first 2 shown]
	v_fma_f16 v54, v53, s12, -v65
	v_fma_f16 v34, v0, s12, -v55
	;; [unrolled: 1-line block ×5, first 2 shown]
	v_fma_f16 v52, v52, s14, v61
	v_fma_f16 v64, v47, s2, v64
	v_add_f16_e32 v48, v48, v50
	v_fma_f16 v41, v47, s2, v41
	v_add_f16_e32 v54, v54, v50
	v_add_f16_e32 v34, v34, v33
	v_fma_f16 v40, v37, s2, v40
	v_fma_f16 v35, v37, s2, v35
	v_add_f16_e32 v0, v0, v33
	v_add_f16_e32 v52, v52, v33
	;; [unrolled: 1-line block ×4, first 2 shown]
	v_sub_f16_e32 v55, v34, v40
	v_fma_f16 v49, v53, s13, -v49
	v_add_f16_e32 v33, v35, v0
	v_sub_f16_e32 v35, v0, v35
	v_sub_f16_e32 v41, v54, v41
	v_add_f16_e32 v34, v40, v34
	v_sub_f16_e32 v40, v48, v64
	s_waitcnt vmcnt(1)
	v_mul_f16_sdwa v0, v36, v56 dst_sel:DWORD dst_unused:UNUSED_PAD src0_sel:DWORD src1_sel:WORD_1
	s_waitcnt vmcnt(0)
	v_mul_f16_sdwa v48, v44, v17 dst_sel:DWORD dst_unused:UNUSED_PAD src0_sel:DWORD src1_sel:WORD_1
	v_mul_f16_sdwa v54, v38, v57 dst_sel:DWORD dst_unused:UNUSED_PAD src0_sel:DWORD src1_sel:WORD_1
	v_mul_f16_sdwa v61, v43, v16 dst_sel:DWORD dst_unused:UNUSED_PAD src0_sel:DWORD src1_sel:WORD_1
	v_add_f16_e32 v49, v49, v50
	v_fma_f16 v46, v51, s8, -v46
	v_fma_f16 v0, v26, v56, v0
	v_fma_f16 v48, v30, v17, v48
	v_mul_f16_sdwa v50, v39, v59 dst_sel:DWORD dst_unused:UNUSED_PAD src0_sel:DWORD src1_sel:WORD_1
	v_mul_f16_sdwa v51, v42, v58 dst_sel:DWORD dst_unused:UNUSED_PAD src0_sel:DWORD src1_sel:WORD_1
	v_fma_f16 v54, v27, v57, v54
	v_fma_f16 v61, v29, v16, v61
	v_mul_f16_sdwa v30, v30, v17 dst_sel:DWORD dst_unused:UNUSED_PAD src0_sel:DWORD src1_sel:WORD_1
	v_mul_f16_sdwa v26, v26, v56 dst_sel:DWORD dst_unused:UNUSED_PAD src0_sel:DWORD src1_sel:WORD_1
	;; [unrolled: 1-line block ×4, first 2 shown]
	v_fma_f16 v66, v63, s3, v62
	v_fma_f16 v50, v25, v59, v50
	;; [unrolled: 1-line block ×3, first 2 shown]
	v_fma_f16 v17, v44, v17, -v30
	v_fma_f16 v26, v36, v56, -v26
	v_mul_f16_sdwa v28, v28, v58 dst_sel:DWORD dst_unused:UNUSED_PAD src0_sel:DWORD src1_sel:WORD_1
	v_mul_f16_sdwa v25, v25, v59 dst_sel:DWORD dst_unused:UNUSED_PAD src0_sel:DWORD src1_sel:WORD_1
	v_fma_f16 v16, v43, v16, -v29
	v_fma_f16 v27, v38, v57, -v27
	v_fma_f16 v66, v37, s2, v66
	v_fma_f16 v46, v47, s2, v46
	v_add_f16_e32 v30, v26, v17
	v_fma_f16 v28, v42, v58, -v28
	v_fma_f16 v25, v39, v59, -v25
	v_add_f16_e32 v29, v27, v16
	v_sub_f16_e32 v68, v52, v66
	v_sub_f16_e32 v47, v49, v46
	v_add_f16_e32 v37, v46, v49
	v_add_f16_e32 v46, v66, v52
	v_sub_f16_e32 v49, v0, v48
	v_sub_f16_e32 v52, v50, v51
	v_add_f16_e32 v36, v25, v28
	v_add_f16_e32 v43, v30, v29
	;; [unrolled: 1-line block ×5, first 2 shown]
	v_sub_f16_e32 v62, v54, v61
	v_sub_f16_e32 v39, v30, v36
	;; [unrolled: 1-line block ×3, first 2 shown]
	v_add_f16_e32 v36, v36, v43
	v_add_f16_e32 v56, v0, v51
	v_sub_f16_e32 v25, v25, v28
	v_sub_f16_e32 v16, v27, v16
	;; [unrolled: 1-line block ×4, first 2 shown]
	v_add_f16_e32 v52, v52, v62
	v_mul_f16_e32 v42, 0x3a52, v39
	v_mul_f16_e32 v38, 0x2b26, v38
	v_add_f16_e32 v32, v32, v36
	v_sub_f16_e32 v48, v0, v44
	v_sub_f16_e32 v54, v44, v51
	v_add_f16_e32 v44, v44, v56
	v_sub_f16_e32 v17, v26, v17
	v_sub_f16_e32 v27, v25, v16
	;; [unrolled: 1-line block ×3, first 2 shown]
	v_mul_f16_e32 v63, 0x3846, v63
	v_add_f16_e32 v52, v49, v52
	v_fma_f16 v39, v39, s14, v38
	v_fma_f16 v36, v36, s6, v32
	v_mul_f16_e32 v50, 0x3a52, v48
	v_mul_f16_e32 v54, 0x2b26, v54
	v_add_f16_e32 v56, v24, v44
	v_sub_f16_e32 v26, v17, v25
	v_mul_f16_e32 v27, 0x3846, v27
	v_add_f16_e32 v25, v25, v16
	v_sub_f16_e32 v49, v62, v49
	v_fma_f16 v30, v29, s12, -v42
	v_sub_f16_e32 v0, v51, v0
	v_sub_f16_e32 v16, v16, v17
	v_fma_f16 v29, v29, s13, -v38
	v_add_f16_e32 v39, v39, v36
	v_fma_f16 v24, v44, s6, v56
	v_add_f16_e32 v25, v17, v25
	v_add_f16_e32 v30, v30, v36
	v_fma_f16 v50, v0, s12, -v50
	v_mul_f16_e32 v17, 0xbb00, v16
	v_add_f16_e32 v29, v29, v36
	v_fma_f16 v36, v49, s8, -v63
	v_fma_f16 v16, v16, s8, -v27
	;; [unrolled: 1-line block ×3, first 2 shown]
	v_fma_f16 v36, v52, s2, v36
	v_fma_f16 v16, v25, s2, v16
	v_add_f16_e32 v0, v0, v24
	v_fma_f16 v28, v26, s3, v27
	v_sub_f16_e32 v38, v29, v36
	v_add_f16_e32 v27, v16, v0
	v_add_f16_e32 v29, v36, v29
	v_sub_f16_e32 v36, v0, v16
	v_mul_hi_u32 v0, v14, s18
	v_fma_f16 v48, v48, s14, v54
	v_lshrrev_b32_e32 v0, 5, v0
	v_add_f16_e32 v44, v48, v24
	v_fma_f16 v28, v25, s2, v28
	v_fma_f16 v17, v26, s9, -v17
	v_mul_lo_u32 v0, v0, s19
	v_sub_f16_e32 v48, v44, v28
	v_add_f16_e32 v50, v50, v24
	v_fma_f16 v17, v25, s2, v17
	v_add_f16_e32 v28, v28, v44
	v_sub_u32_e32 v44, v14, v0
	v_mul_f16_e32 v57, 0xbb00, v49
	v_sub_f16_e32 v26, v50, v17
	v_add_f16_e32 v49, v17, v50
	v_mad_u64_u32 v[16:17], s[14:15], s16, v44, 0
	v_mov_b32_e32 v0, v17
	v_mad_u64_u32 v[24:25], s[14:15], s17, v44, v[0:1]
	v_mov_b32_e32 v17, v24
	v_lshl_add_u64 v[4:5], v[16:17], 2, v[2:3]
	v_pack_b32_f16 v0, v56, v32
	v_add_u32_e32 v16, 0x90, v44
	global_store_dword v[4:5], v0, off
	v_mad_u64_u32 v[4:5], s[10:11], s16, v16, 0
	v_fma_f16 v64, v53, s3, v63
	v_mov_b32_e32 v0, v5
	v_fma_f16 v64, v52, s2, v64
	v_mad_u64_u32 v[16:17], s[10:11], s17, v16, v[0:1]
	v_add_f16_e32 v43, v64, v39
	v_sub_f16_e32 v39, v39, v64
	v_mov_b32_e32 v5, v16
	v_lshl_add_u64 v[4:5], v[4:5], 2, v[2:3]
	v_pack_b32_f16 v0, v28, v39
	v_add_u32_e32 v16, 0x120, v44
	global_store_dword v[4:5], v0, off
	v_mad_u64_u32 v[4:5], s[10:11], s16, v16, 0
	v_fma_f16 v53, v53, s9, -v57
	v_mov_b32_e32 v0, v5
	v_fma_f16 v53, v52, s2, v53
	v_mad_u64_u32 v[16:17], s[10:11], s17, v16, v[0:1]
	v_add_f16_e32 v42, v53, v30
	v_sub_f16_e32 v30, v30, v53
	v_mov_b32_e32 v5, v16
	v_lshl_add_u64 v[4:5], v[4:5], 2, v[2:3]
	v_pack_b32_f16 v0, v49, v30
	v_add_u32_e32 v16, 0x1b0, v44
	global_store_dword v[4:5], v0, off
	v_mad_u64_u32 v[4:5], s[10:11], s16, v16, 0
	v_mov_b32_e32 v0, v5
	v_mad_u64_u32 v[16:17], s[10:11], s17, v16, v[0:1]
	v_mov_b32_e32 v5, v16
	v_lshl_add_u64 v[4:5], v[4:5], 2, v[2:3]
	v_pack_b32_f16 v0, v36, v29
	v_add_u32_e32 v16, 0x240, v44
	global_store_dword v[4:5], v0, off
	v_mad_u64_u32 v[4:5], s[10:11], s16, v16, 0
	v_mov_b32_e32 v0, v5
	v_mad_u64_u32 v[16:17], s[10:11], s17, v16, v[0:1]
	;; [unrolled: 8-line block ×4, first 2 shown]
	v_mov_b32_e32 v5, v16
	v_lshl_add_u64 v[4:5], v[4:5], 2, v[2:3]
	v_pack_b32_f16 v0, v48, v43
	global_store_dword v[4:5], v0, off
	v_add_u32_e32 v0, 56, v14
	v_mul_hi_u32 v4, v0, s18
	v_lshrrev_b32_e32 v4, 5, v4
	v_mul_lo_u32 v5, v4, s19
	v_sub_u32_e32 v0, v0, v5
	s_movk_i32 s10, 0x3f0
	v_mad_u64_u32 v[4:5], s[10:11], v4, s10, v[0:1]
	v_mad_u64_u32 v[16:17], s[10:11], s16, v4, 0
	v_mov_b32_e32 v0, v17
	v_mad_u64_u32 v[24:25], s[10:11], s17, v4, v[0:1]
	v_mov_b32_e32 v17, v24
	v_lshl_add_u64 v[16:17], v[16:17], 2, v[2:3]
	v_pack_b32_f16 v0, v31, v45
	v_add_u32_e32 v5, 0x90, v4
	global_store_dword v[16:17], v0, off
	v_mad_u64_u32 v[16:17], s[10:11], s16, v5, 0
	v_mov_b32_e32 v0, v17
	v_mad_u64_u32 v[24:25], s[10:11], s17, v5, v[0:1]
	v_mov_b32_e32 v17, v24
	v_lshl_add_u64 v[16:17], v[16:17], 2, v[2:3]
	v_pack_b32_f16 v0, v46, v40
	v_add_u32_e32 v5, 0x120, v4
	global_store_dword v[16:17], v0, off
	;; [unrolled: 8-line block ×5, first 2 shown]
	v_mad_u64_u32 v[16:17], s[10:11], s16, v5, 0
	v_mov_b32_e32 v0, v17
	v_mad_u64_u32 v[24:25], s[10:11], s17, v5, v[0:1]
	v_mov_b32_e32 v17, v24
	v_lshl_add_u64 v[16:17], v[16:17], 2, v[2:3]
	v_pack_b32_f16 v0, v55, v60
	global_store_dword v[16:17], v0, off
	v_add_u32_e32 v16, 0x360, v4
	v_mad_u64_u32 v[4:5], s[10:11], s16, v16, 0
	v_mov_b32_e32 v0, v5
	v_mad_u64_u32 v[16:17], s[10:11], s17, v16, v[0:1]
	v_mov_b32_e32 v5, v16
	v_lshl_add_u64 v[4:5], v[4:5], 2, v[2:3]
	v_pack_b32_f16 v0, v68, v67
	global_store_dword v[4:5], v0, off
	v_add_u32_e32 v4, 0x70, v14
	v_cmp_gt_u32_e32 vcc, s19, v4
	s_and_b64 exec, exec, vcc
	s_cbranch_execz .LBB0_20
; %bb.19:
	v_subrev_u32_e32 v0, 32, v14
	v_cndmask_b32_e64 v0, v0, v15, s[0:1]
	v_mul_i32_i24_e32 v0, 6, v0
	v_lshl_add_u64 v[0:1], v[0:1], 2, s[4:5]
	global_load_dwordx4 v[24:27], v[0:1], off offset:568
	global_load_dwordx2 v[16:17], v[0:1], off offset:584
	s_waitcnt vmcnt(1)
	v_mul_f16_sdwa v0, v20, v24 dst_sel:DWORD dst_unused:UNUSED_PAD src0_sel:DWORD src1_sel:WORD_1
	v_mul_f16_sdwa v1, v9, v24 dst_sel:DWORD dst_unused:UNUSED_PAD src0_sel:DWORD src1_sel:WORD_1
	;; [unrolled: 1-line block ×4, first 2 shown]
	s_waitcnt vmcnt(0)
	v_mul_f16_sdwa v32, v23, v16 dst_sel:DWORD dst_unused:UNUSED_PAD src0_sel:DWORD src1_sel:WORD_1
	v_mul_f16_sdwa v33, v12, v16 dst_sel:DWORD dst_unused:UNUSED_PAD src0_sel:DWORD src1_sel:WORD_1
	;; [unrolled: 1-line block ×8, first 2 shown]
	v_fma_f16 v0, v9, v24, v0
	v_fma_f16 v1, v20, v24, -v1
	v_fma_f16 v5, v7, v25, v5
	v_fma_f16 v7, v19, v25, -v15
	;; [unrolled: 2-line block ×6, first 2 shown]
	v_add_f16_e32 v18, v0, v11
	v_add_f16_e32 v19, v1, v17
	v_sub_f16_e32 v0, v0, v11
	v_sub_f16_e32 v1, v1, v17
	v_add_f16_e32 v11, v5, v12
	v_add_f16_e32 v17, v7, v16
	v_sub_f16_e32 v5, v5, v12
	v_sub_f16_e32 v7, v7, v16
	;; [unrolled: 4-line block ×4, first 2 shown]
	v_sub_f16_e32 v18, v18, v12
	v_sub_f16_e32 v19, v19, v16
	;; [unrolled: 1-line block ×4, first 2 shown]
	v_add_f16_e32 v22, v8, v5
	v_add_f16_e32 v23, v9, v7
	v_sub_f16_e32 v24, v8, v5
	v_sub_f16_e32 v25, v9, v7
	;; [unrolled: 1-line block ×4, first 2 shown]
	v_add_f16_e32 v10, v12, v10
	v_add_f16_e32 v12, v16, v15
	v_sub_f16_e32 v8, v0, v8
	v_sub_f16_e32 v9, v1, v9
	v_add_f16_e32 v0, v22, v0
	v_add_f16_e32 v1, v23, v1
	v_mul_f16_e32 v15, 0x3a52, v18
	v_mul_f16_e32 v16, 0x3a52, v19
	;; [unrolled: 1-line block ×8, first 2 shown]
	v_add_f16_e32 v26, v6, v10
	v_add_f16_e32 v13, v13, v12
	v_fma_f16 v6, v11, s7, v15
	v_fma_f16 v11, v17, s7, v16
	v_fma_f16 v17, v20, s13, -v18
	v_fma_f16 v18, v21, s13, -v19
	;; [unrolled: 1-line block ×4, first 2 shown]
	v_fma_f16 v19, v8, s3, v22
	v_fma_f16 v20, v9, s3, v23
	v_fma_f16 v5, v5, s8, -v22
	v_fma_f16 v7, v7, s8, -v23
	;; [unrolled: 1-line block ×4, first 2 shown]
	v_fma_f16 v10, v10, s6, v26
	v_fma_f16 v12, v12, s6, v13
	v_add_f16_e32 v6, v6, v10
	v_add_f16_e32 v11, v11, v12
	;; [unrolled: 1-line block ×6, first 2 shown]
	v_fma_f16 v15, v0, s2, v19
	v_fma_f16 v16, v1, s2, v20
	;; [unrolled: 1-line block ×6, first 2 shown]
	v_add_f16_e32 v19, v1, v10
	v_sub_f16_e32 v20, v12, v0
	v_sub_f16_e32 v10, v10, v1
	v_add_f16_e32 v12, v0, v12
	v_mad_u64_u32 v[0:1], s[0:1], s16, v4, 0
	v_add_f16_e32 v8, v16, v6
	v_sub_f16_e32 v21, v17, v7
	v_add_f16_e32 v7, v7, v17
	v_sub_f16_e32 v16, v6, v16
	v_mov_b32_e32 v6, v1
	v_add_f16_e32 v22, v5, v18
	v_sub_f16_e32 v17, v18, v5
	v_mad_u64_u32 v[4:5], s[0:1], s17, v4, v[6:7]
	v_mov_b32_e32 v1, v4
	v_lshl_add_u64 v[0:1], v[0:1], 2, v[2:3]
	v_pack_b32_f16 v4, v26, v13
	v_add_u32_e32 v5, 0x100, v14
	global_store_dword v[0:1], v4, off
	v_mad_u64_u32 v[0:1], s[0:1], s16, v5, 0
	v_mov_b32_e32 v4, v1
	v_mad_u64_u32 v[4:5], s[0:1], s17, v5, v[4:5]
	v_sub_f16_e32 v9, v11, v15
	v_mov_b32_e32 v1, v4
	v_lshl_add_u64 v[0:1], v[0:1], 2, v[2:3]
	v_pack_b32_f16 v4, v8, v9
	v_add_u32_e32 v5, 0x190, v14
	global_store_dword v[0:1], v4, off
	v_mad_u64_u32 v[0:1], s[0:1], s16, v5, 0
	v_mov_b32_e32 v4, v1
	v_mad_u64_u32 v[4:5], s[0:1], s17, v5, v[4:5]
	v_mov_b32_e32 v1, v4
	v_lshl_add_u64 v[0:1], v[0:1], 2, v[2:3]
	v_pack_b32_f16 v4, v19, v20
	v_add_u32_e32 v5, 0x220, v14
	global_store_dword v[0:1], v4, off
	v_mad_u64_u32 v[0:1], s[0:1], s16, v5, 0
	v_mov_b32_e32 v4, v1
	v_mad_u64_u32 v[4:5], s[0:1], s17, v5, v[4:5]
	;; [unrolled: 8-line block ×5, first 2 shown]
	v_add_f16_e32 v11, v15, v11
	v_mov_b32_e32 v1, v4
	v_lshl_add_u64 v[0:1], v[0:1], 2, v[2:3]
	v_pack_b32_f16 v2, v16, v11
	global_store_dword v[0:1], v2, off
.LBB0_20:
	s_endpgm
	.section	.rodata,"a",@progbits
	.p2align	6, 0x0
	.amdhsa_kernel fft_rtc_back_len1008_factors_2_2_2_2_3_3_7_wgs_56_tpt_56_halfLds_half_op_CI_CI_sbrr_dirReg
		.amdhsa_group_segment_fixed_size 0
		.amdhsa_private_segment_fixed_size 0
		.amdhsa_kernarg_size 104
		.amdhsa_user_sgpr_count 2
		.amdhsa_user_sgpr_dispatch_ptr 0
		.amdhsa_user_sgpr_queue_ptr 0
		.amdhsa_user_sgpr_kernarg_segment_ptr 1
		.amdhsa_user_sgpr_dispatch_id 0
		.amdhsa_user_sgpr_kernarg_preload_length 0
		.amdhsa_user_sgpr_kernarg_preload_offset 0
		.amdhsa_user_sgpr_private_segment_size 0
		.amdhsa_uses_dynamic_stack 0
		.amdhsa_enable_private_segment 0
		.amdhsa_system_sgpr_workgroup_id_x 1
		.amdhsa_system_sgpr_workgroup_id_y 0
		.amdhsa_system_sgpr_workgroup_id_z 0
		.amdhsa_system_sgpr_workgroup_info 0
		.amdhsa_system_vgpr_workitem_id 0
		.amdhsa_next_free_vgpr 77
		.amdhsa_next_free_sgpr 32
		.amdhsa_accum_offset 80
		.amdhsa_reserve_vcc 1
		.amdhsa_float_round_mode_32 0
		.amdhsa_float_round_mode_16_64 0
		.amdhsa_float_denorm_mode_32 3
		.amdhsa_float_denorm_mode_16_64 3
		.amdhsa_dx10_clamp 1
		.amdhsa_ieee_mode 1
		.amdhsa_fp16_overflow 0
		.amdhsa_tg_split 0
		.amdhsa_exception_fp_ieee_invalid_op 0
		.amdhsa_exception_fp_denorm_src 0
		.amdhsa_exception_fp_ieee_div_zero 0
		.amdhsa_exception_fp_ieee_overflow 0
		.amdhsa_exception_fp_ieee_underflow 0
		.amdhsa_exception_fp_ieee_inexact 0
		.amdhsa_exception_int_div_zero 0
	.end_amdhsa_kernel
	.text
.Lfunc_end0:
	.size	fft_rtc_back_len1008_factors_2_2_2_2_3_3_7_wgs_56_tpt_56_halfLds_half_op_CI_CI_sbrr_dirReg, .Lfunc_end0-fft_rtc_back_len1008_factors_2_2_2_2_3_3_7_wgs_56_tpt_56_halfLds_half_op_CI_CI_sbrr_dirReg
                                        ; -- End function
	.section	.AMDGPU.csdata,"",@progbits
; Kernel info:
; codeLenInByte = 14432
; NumSgprs: 38
; NumVgprs: 77
; NumAgprs: 0
; TotalNumVgprs: 77
; ScratchSize: 0
; MemoryBound: 0
; FloatMode: 240
; IeeeMode: 1
; LDSByteSize: 0 bytes/workgroup (compile time only)
; SGPRBlocks: 4
; VGPRBlocks: 9
; NumSGPRsForWavesPerEU: 38
; NumVGPRsForWavesPerEU: 77
; AccumOffset: 80
; Occupancy: 6
; WaveLimiterHint : 1
; COMPUTE_PGM_RSRC2:SCRATCH_EN: 0
; COMPUTE_PGM_RSRC2:USER_SGPR: 2
; COMPUTE_PGM_RSRC2:TRAP_HANDLER: 0
; COMPUTE_PGM_RSRC2:TGID_X_EN: 1
; COMPUTE_PGM_RSRC2:TGID_Y_EN: 0
; COMPUTE_PGM_RSRC2:TGID_Z_EN: 0
; COMPUTE_PGM_RSRC2:TIDIG_COMP_CNT: 0
; COMPUTE_PGM_RSRC3_GFX90A:ACCUM_OFFSET: 19
; COMPUTE_PGM_RSRC3_GFX90A:TG_SPLIT: 0
	.text
	.p2alignl 6, 3212836864
	.fill 256, 4, 3212836864
	.type	__hip_cuid_1077e1e3806ae07b,@object ; @__hip_cuid_1077e1e3806ae07b
	.section	.bss,"aw",@nobits
	.globl	__hip_cuid_1077e1e3806ae07b
__hip_cuid_1077e1e3806ae07b:
	.byte	0                               ; 0x0
	.size	__hip_cuid_1077e1e3806ae07b, 1

	.ident	"AMD clang version 19.0.0git (https://github.com/RadeonOpenCompute/llvm-project roc-6.4.0 25133 c7fe45cf4b819c5991fe208aaa96edf142730f1d)"
	.section	".note.GNU-stack","",@progbits
	.addrsig
	.addrsig_sym __hip_cuid_1077e1e3806ae07b
	.amdgpu_metadata
---
amdhsa.kernels:
  - .agpr_count:     0
    .args:
      - .actual_access:  read_only
        .address_space:  global
        .offset:         0
        .size:           8
        .value_kind:     global_buffer
      - .offset:         8
        .size:           8
        .value_kind:     by_value
      - .actual_access:  read_only
        .address_space:  global
        .offset:         16
        .size:           8
        .value_kind:     global_buffer
      - .actual_access:  read_only
        .address_space:  global
        .offset:         24
        .size:           8
        .value_kind:     global_buffer
      - .actual_access:  read_only
        .address_space:  global
        .offset:         32
        .size:           8
        .value_kind:     global_buffer
      - .offset:         40
        .size:           8
        .value_kind:     by_value
      - .actual_access:  read_only
        .address_space:  global
        .offset:         48
        .size:           8
        .value_kind:     global_buffer
      - .actual_access:  read_only
        .address_space:  global
        .offset:         56
        .size:           8
        .value_kind:     global_buffer
      - .offset:         64
        .size:           4
        .value_kind:     by_value
      - .actual_access:  read_only
        .address_space:  global
        .offset:         72
        .size:           8
        .value_kind:     global_buffer
      - .actual_access:  read_only
        .address_space:  global
        .offset:         80
        .size:           8
        .value_kind:     global_buffer
      - .actual_access:  read_only
        .address_space:  global
        .offset:         88
        .size:           8
        .value_kind:     global_buffer
      - .actual_access:  write_only
        .address_space:  global
        .offset:         96
        .size:           8
        .value_kind:     global_buffer
    .group_segment_fixed_size: 0
    .kernarg_segment_align: 8
    .kernarg_segment_size: 104
    .language:       OpenCL C
    .language_version:
      - 2
      - 0
    .max_flat_workgroup_size: 56
    .name:           fft_rtc_back_len1008_factors_2_2_2_2_3_3_7_wgs_56_tpt_56_halfLds_half_op_CI_CI_sbrr_dirReg
    .private_segment_fixed_size: 0
    .sgpr_count:     38
    .sgpr_spill_count: 0
    .symbol:         fft_rtc_back_len1008_factors_2_2_2_2_3_3_7_wgs_56_tpt_56_halfLds_half_op_CI_CI_sbrr_dirReg.kd
    .uniform_work_group_size: 1
    .uses_dynamic_stack: false
    .vgpr_count:     77
    .vgpr_spill_count: 0
    .wavefront_size: 64
amdhsa.target:   amdgcn-amd-amdhsa--gfx950
amdhsa.version:
  - 1
  - 2
...

	.end_amdgpu_metadata
